;; amdgpu-corpus repo=ROCm/rocFFT kind=compiled arch=gfx950 opt=O3
	.text
	.amdgcn_target "amdgcn-amd-amdhsa--gfx950"
	.amdhsa_code_object_version 6
	.protected	bluestein_single_fwd_len234_dim1_sp_op_CI_CI ; -- Begin function bluestein_single_fwd_len234_dim1_sp_op_CI_CI
	.globl	bluestein_single_fwd_len234_dim1_sp_op_CI_CI
	.p2align	8
	.type	bluestein_single_fwd_len234_dim1_sp_op_CI_CI,@function
bluestein_single_fwd_len234_dim1_sp_op_CI_CI: ; @bluestein_single_fwd_len234_dim1_sp_op_CI_CI
; %bb.0:
	s_load_dwordx4 s[8:11], s[0:1], 0x28
	v_mul_u32_u24_e32 v1, 0x9d9, v0
	v_lshrrev_b32_e32 v1, 16, v1
	v_mov_b32_e32 v43, 0
	v_lshl_add_u32 v44, s2, 1, v1
	v_mov_b32_e32 v45, v43
	s_waitcnt lgkmcnt(0)
	v_cmp_gt_u64_e32 vcc, s[8:9], v[44:45]
	s_and_saveexec_b64 s[2:3], vcc
	s_cbranch_execz .LBB0_23
; %bb.1:
	s_load_dwordx2 s[8:9], s[0:1], 0x0
	s_load_dwordx2 s[12:13], s[0:1], 0x38
	v_mul_lo_u16_e32 v2, 26, v1
	v_sub_u16_e32 v42, v0, v2
	v_and_b32_e32 v0, 1, v1
	v_mov_b32_e32 v1, 0xea
	v_cmp_eq_u32_e32 vcc, 1, v0
	v_lshlrev_b32_e32 v45, 3, v42
	s_nop 0
	v_cndmask_b32_e32 v158, 0, v1, vcc
	v_cmp_gt_u16_e32 vcc, 18, v42
	v_lshlrev_b32_e32 v159, 3, v158
	s_and_saveexec_b64 s[2:3], vcc
	s_cbranch_execz .LBB0_3
; %bb.2:
	s_load_dwordx2 s[4:5], s[0:1], 0x18
	v_mov_b32_e32 v0, s10
	v_mov_b32_e32 v1, s11
	;; [unrolled: 1-line block ×3, first 2 shown]
	v_lshl_add_u32 v58, v42, 3, v159
	s_waitcnt lgkmcnt(0)
	s_load_dwordx4 s[4:7], s[4:5], 0x0
	v_add_u32_e32 v59, v159, v45
	s_waitcnt lgkmcnt(0)
	v_mad_u64_u32 v[2:3], s[10:11], s6, v44, 0
	v_mad_u64_u32 v[4:5], s[10:11], s4, v42, 0
	v_mov_b32_e32 v6, v3
	v_mov_b32_e32 v8, v5
	v_mad_u64_u32 v[6:7], s[6:7], s7, v44, v[6:7]
	v_mov_b32_e32 v3, v6
	v_mad_u64_u32 v[6:7], s[6:7], s5, v42, v[8:9]
	v_mov_b32_e32 v5, v6
	v_lshl_add_u64 v[0:1], v[2:3], 3, v[0:1]
	v_lshl_add_u64 v[0:1], v[4:5], 3, v[0:1]
	global_load_dwordx2 v[2:3], v[0:1], off
	v_mad_u64_u32 v[0:1], s[6:7], s4, v54, v[0:1]
	s_mul_i32 s10, s5, 0x90
	v_add_u32_e32 v1, s10, v1
	global_load_dwordx2 v[4:5], v[0:1], off
	v_mad_u64_u32 v[0:1], s[6:7], s4, v54, v[0:1]
	v_add_u32_e32 v1, s10, v1
	v_mad_u64_u32 v[8:9], s[6:7], s4, v54, v[0:1]
	v_add_u32_e32 v9, s10, v9
	global_load_dwordx2 v[6:7], v45, s[8:9]
	global_load_dwordx2 v[10:11], v45, s[8:9] offset:144
	global_load_dwordx2 v[12:13], v45, s[8:9] offset:288
	;; [unrolled: 1-line block ×3, first 2 shown]
	global_load_dwordx2 v[16:17], v[0:1], off
	v_mad_u64_u32 v[0:1], s[6:7], s4, v54, v[8:9]
	v_add_u32_e32 v1, s10, v1
	global_load_dwordx2 v[18:19], v[8:9], off
	global_load_dwordx2 v[20:21], v[0:1], off
	v_mad_u64_u32 v[0:1], s[6:7], s4, v54, v[0:1]
	v_add_u32_e32 v1, s10, v1
	global_load_dwordx2 v[8:9], v[0:1], off
	global_load_dwordx2 v[22:23], v45, s[8:9] offset:576
	v_mad_u64_u32 v[0:1], s[6:7], s4, v54, v[0:1]
	v_add_u32_e32 v1, s10, v1
	global_load_dwordx2 v[24:25], v[0:1], off
	global_load_dwordx2 v[26:27], v45, s[8:9] offset:720
	v_mad_u64_u32 v[0:1], s[6:7], s4, v54, v[0:1]
	v_add_u32_e32 v1, s10, v1
	global_load_dwordx2 v[28:29], v45, s[8:9] offset:864
	global_load_dwordx2 v[30:31], v[0:1], off
	global_load_dwordx2 v[32:33], v45, s[8:9] offset:1008
	v_mad_u64_u32 v[0:1], s[6:7], s4, v54, v[0:1]
	v_add_u32_e32 v1, s10, v1
	global_load_dwordx2 v[34:35], v[0:1], off
	v_mad_u64_u32 v[0:1], s[6:7], s4, v54, v[0:1]
	v_add_u32_e32 v1, s10, v1
	global_load_dwordx2 v[38:39], v[0:1], off
	v_mad_u64_u32 v[0:1], s[6:7], s4, v54, v[0:1]
	global_load_dwordx2 v[36:37], v45, s[8:9] offset:1152
	global_load_dwordx2 v[40:41], v45, s[8:9] offset:1296
	v_add_u32_e32 v1, s10, v1
	global_load_dwordx2 v[46:47], v[0:1], off
	global_load_dwordx2 v[48:49], v45, s[8:9] offset:1440
	v_mad_u64_u32 v[0:1], s[6:7], s4, v54, v[0:1]
	v_add_u32_e32 v1, s10, v1
	global_load_dwordx2 v[50:51], v[0:1], off
	global_load_dwordx2 v[52:53], v45, s[8:9] offset:1584
	v_mad_u64_u32 v[0:1], s[4:5], s4, v54, v[0:1]
	v_add_u32_e32 v1, s10, v1
	global_load_dwordx2 v[54:55], v45, s[8:9] offset:1728
	global_load_dwordx2 v[56:57], v[0:1], off
	s_waitcnt vmcnt(23)
	v_mul_f32_e32 v1, v2, v7
	v_mul_f32_e32 v0, v3, v7
	v_fma_f32 v1, v3, v6, -v1
	v_fmac_f32_e32 v0, v2, v6
	ds_write_b64 v58, v[0:1]
	s_waitcnt vmcnt(22)
	v_mul_f32_e32 v0, v5, v11
	v_mul_f32_e32 v1, v4, v11
	s_waitcnt vmcnt(19)
	v_mul_f32_e32 v2, v17, v13
	v_mul_f32_e32 v3, v16, v13
	v_fmac_f32_e32 v0, v4, v10
	v_fma_f32 v1, v5, v10, -v1
	v_fmac_f32_e32 v2, v16, v12
	v_fma_f32 v3, v17, v12, -v3
	ds_write2_b64 v59, v[0:1], v[2:3] offset0:18 offset1:36
	s_waitcnt vmcnt(18)
	v_mul_f32_e32 v0, v19, v15
	v_mul_f32_e32 v1, v18, v15
	s_waitcnt vmcnt(15)
	v_mul_f32_e32 v2, v21, v23
	v_mul_f32_e32 v3, v20, v23
	v_fmac_f32_e32 v0, v18, v14
	v_fma_f32 v1, v19, v14, -v1
	v_fmac_f32_e32 v2, v20, v22
	v_fma_f32 v3, v21, v22, -v3
	ds_write2_b64 v59, v[0:1], v[2:3] offset0:54 offset1:72
	;; [unrolled: 11-line block ×6, first 2 shown]
.LBB0_3:
	s_or_b64 exec, exec, s[2:3]
	s_load_dwordx2 s[2:3], s[0:1], 0x20
	v_mov_b64_e32 v[0:1], 0
	s_waitcnt lgkmcnt(0)
	; wave barrier
	s_waitcnt lgkmcnt(0)
                                        ; implicit-def: $vgpr6
                                        ; implicit-def: $vgpr12
                                        ; implicit-def: $vgpr10
                                        ; implicit-def: $vgpr28
                                        ; implicit-def: $vgpr22
                                        ; implicit-def: $vgpr38
	s_and_saveexec_b64 s[4:5], vcc
	s_cbranch_execz .LBB0_5
; %bb.4:
	v_lshlrev_b32_e32 v0, 3, v42
	v_lshl_add_u32 v16, v158, 3, v0
	ds_read2_b64 v[0:3], v16 offset1:18
	ds_read2_b64 v[20:23], v16 offset0:36 offset1:54
	ds_read2_b64 v[8:11], v16 offset0:72 offset1:90
	;; [unrolled: 1-line block ×5, first 2 shown]
	ds_read_b64 v[38:39], v16 offset:1728
.LBB0_5:
	s_or_b64 exec, exec, s[4:5]
	s_waitcnt lgkmcnt(0)
	v_pk_add_f32 v[34:35], v[2:3], v[38:39] neg_lo:[0,1] neg_hi:[0,1]
	s_mov_b32 s10, 0xbf7e222b
	v_pk_add_f32 v[32:33], v[38:39], v[2:3]
	s_mov_b32 s4, 0x3df6dbef
	v_pk_mul_f32 v[16:17], v[34:35], s[10:11] op_sel_hi:[1,0]
	s_mov_b32 s22, 0xbf52af12
	v_pk_fma_f32 v[58:59], v[32:33], s[4:5], v[16:17] op_sel:[0,0,1] op_sel_hi:[1,0,0]
	v_pk_fma_f32 v[52:53], v[32:33], s[4:5], v[16:17] op_sel:[0,0,1] op_sel_hi:[1,0,0] neg_lo:[0,0,1] neg_hi:[0,0,1]
	v_pk_add_f32 v[68:69], v[20:21], v[30:31] neg_lo:[0,1] neg_hi:[0,1]
	s_mov_b32 s6, 0x3f116cb1
	v_pk_mul_f32 v[16:17], v[34:35], s[22:23] op_sel_hi:[1,0]
	s_mov_b32 s16, 0xbf6f5d39
	v_pk_add_f32 v[36:37], v[30:31], v[20:21]
	v_pk_fma_f32 v[54:55], v[32:33], s[6:7], v[16:17] op_sel:[0,0,1] op_sel_hi:[1,0,0]
	v_pk_fma_f32 v[56:57], v[32:33], s[6:7], v[16:17] op_sel:[0,0,1] op_sel_hi:[1,0,0] neg_lo:[0,0,1] neg_hi:[0,0,1]
	s_mov_b32 s14, 0xbeb58ec6
	v_pk_mul_f32 v[26:27], v[68:69], s[16:17] op_sel:[1,0] op_sel_hi:[0,0]
	v_mov_b32_e32 v16, v54
	v_mov_b32_e32 v17, v57
	v_pk_fma_f32 v[64:65], v[36:37], s[14:15], v[26:27] op_sel_hi:[1,0,1]
	v_pk_fma_f32 v[66:67], v[36:37], s[14:15], v[26:27] op_sel_hi:[1,0,1] neg_lo:[0,0,1] neg_hi:[0,0,1]
	v_pk_add_f32 v[16:17], v[16:17], v[0:1]
	v_mov_b32_e32 v26, v64
	v_mov_b32_e32 v27, v67
	s_mov_b32 s20, 0xbe750f2a
	v_pk_add_f32 v[16:17], v[26:27], v[16:17]
	s_mov_b32 s18, 0xbf788fa5
	v_pk_mul_f32 v[26:27], v[68:69], s[20:21] op_sel:[1,0] op_sel_hi:[0,0]
	v_mov_b32_e32 v18, v58
	v_mov_b32_e32 v19, v53
	v_pk_fma_f32 v[60:61], v[36:37], s[18:19], v[26:27] op_sel_hi:[1,0,1]
	v_pk_fma_f32 v[62:63], v[36:37], s[18:19], v[26:27] op_sel_hi:[1,0,1] neg_lo:[0,0,1] neg_hi:[0,0,1]
	v_pk_add_f32 v[70:71], v[22:23], v[28:29] neg_lo:[0,1] neg_hi:[0,1]
	v_pk_add_f32 v[18:19], v[18:19], v[0:1]
	v_mov_b32_e32 v26, v60
	v_mov_b32_e32 v27, v63
	v_pk_add_f32 v[24:25], v[28:29], v[22:23]
	v_pk_add_f32 v[18:19], v[26:27], v[18:19]
	v_pk_mul_f32 v[26:27], v[70:71], s[20:21] op_sel:[1,0] op_sel_hi:[0,0]
	v_pk_fma_f32 v[76:77], v[24:25], s[18:19], v[26:27] op_sel_hi:[1,0,1]
	v_pk_fma_f32 v[78:79], v[24:25], s[18:19], v[26:27] op_sel_hi:[1,0,1] neg_lo:[0,0,1] neg_hi:[0,0,1]
	v_mov_b32_e32 v26, v76
	v_mov_b32_e32 v27, v79
	s_mov_b32 s24, 0x3f6f5d39
	v_pk_add_f32 v[16:17], v[26:27], v[16:17]
	v_pk_mul_f32 v[26:27], v[70:71], s[24:25] op_sel:[1,0] op_sel_hi:[0,0]
	v_pk_fma_f32 v[72:73], v[24:25], s[14:15], v[26:27] op_sel_hi:[1,0,1]
	v_pk_fma_f32 v[74:75], v[24:25], s[14:15], v[26:27] op_sel_hi:[1,0,1] neg_lo:[0,0,1] neg_hi:[0,0,1]
	v_mov_b32_e32 v26, v72
	v_mov_b32_e32 v27, v75
	s_mov_b32 s36, 0x3f29c268
	v_pk_add_f32 v[104:105], v[8:9], v[14:15] neg_lo:[0,1] neg_hi:[0,1]
	v_pk_add_f32 v[18:19], v[26:27], v[18:19]
	s_mov_b32 s24, 0xbf3f9e67
	v_pk_add_f32 v[40:41], v[14:15], v[8:9]
	v_pk_mul_f32 v[26:27], v[104:105], s[36:37] op_sel:[1,0] op_sel_hi:[0,0]
	v_pk_fma_f32 v[84:85], v[40:41], s[24:25], v[26:27] op_sel_hi:[1,0,1]
	v_pk_fma_f32 v[86:87], v[40:41], s[24:25], v[26:27] op_sel_hi:[1,0,1] neg_lo:[0,0,1] neg_hi:[0,0,1]
	v_mov_b32_e32 v26, v84
	v_mov_b32_e32 v27, v87
	s_mov_b32 s30, 0x3eedf032
	v_pk_add_f32 v[16:17], v[26:27], v[16:17]
	s_mov_b32 s28, 0x3f62ad3f
	v_pk_mul_f32 v[26:27], v[104:105], s[30:31] op_sel:[1,0] op_sel_hi:[0,0]
	v_pk_fma_f32 v[80:81], v[40:41], s[28:29], v[26:27] op_sel_hi:[1,0,1]
	v_pk_fma_f32 v[82:83], v[40:41], s[28:29], v[26:27] op_sel_hi:[1,0,1] neg_lo:[0,0,1] neg_hi:[0,0,1]
	v_mov_b32_e32 v26, v80
	v_mov_b32_e32 v27, v83
	s_mov_b32 s26, 0x3f7e222b
	v_pk_add_f32 v[114:115], v[10:11], v[12:13] neg_lo:[0,1] neg_hi:[0,1]
	v_pk_add_f32 v[18:19], v[26:27], v[18:19]
	v_pk_add_f32 v[48:49], v[12:13], v[10:11]
	v_pk_mul_f32 v[26:27], v[114:115], s[26:27] op_sel:[1,0] op_sel_hi:[0,0]
	v_pk_fma_f32 v[92:93], v[48:49], s[4:5], v[26:27] op_sel_hi:[1,0,1]
	v_pk_fma_f32 v[94:95], v[48:49], s[4:5], v[26:27] op_sel_hi:[1,0,1] neg_lo:[0,0,1] neg_hi:[0,0,1]
	v_mov_b32_e32 v26, v92
	v_mov_b32_e32 v27, v95
	v_pk_add_f32 v[16:17], v[26:27], v[16:17]
	v_pk_mul_f32 v[26:27], v[114:115], s[22:23] op_sel:[1,0] op_sel_hi:[0,0]
	v_pk_fma_f32 v[88:89], v[48:49], s[6:7], v[26:27] op_sel_hi:[1,0,1]
	v_pk_fma_f32 v[90:91], v[48:49], s[6:7], v[26:27] op_sel_hi:[1,0,1] neg_lo:[0,0,1] neg_hi:[0,0,1]
	v_mov_b32_e32 v26, v88
	v_mov_b32_e32 v27, v91
	v_pk_add_f32 v[116:117], v[4:5], v[6:7] neg_lo:[0,1] neg_hi:[0,1]
	v_pk_add_f32 v[26:27], v[26:27], v[18:19]
	v_pk_add_f32 v[50:51], v[6:7], v[4:5]
	v_pk_mul_f32 v[18:19], v[116:117], s[30:31] op_sel:[1,0] op_sel_hi:[0,0]
	v_pk_fma_f32 v[100:101], v[50:51], s[28:29], v[18:19] op_sel_hi:[1,0,1]
	v_pk_fma_f32 v[102:103], v[50:51], s[28:29], v[18:19] op_sel_hi:[1,0,1] neg_lo:[0,0,1] neg_hi:[0,0,1]
	s_mov_b32 s34, 0xbf29c268
	v_mov_b32_e32 v18, v100
	v_mov_b32_e32 v19, v103
	v_pk_add_f32 v[18:19], v[18:19], v[16:17]
	v_pk_mul_f32 v[16:17], v[116:117], s[34:35] op_sel:[1,0] op_sel_hi:[0,0]
	v_pk_fma_f32 v[96:97], v[50:51], s[24:25], v[16:17] op_sel_hi:[1,0,1]
	v_pk_fma_f32 v[98:99], v[50:51], s[24:25], v[16:17] op_sel_hi:[1,0,1] neg_lo:[0,0,1] neg_hi:[0,0,1]
	v_mov_b32_e32 v16, v96
	v_mov_b32_e32 v17, v99
	s_mov_b32 s38, 0xbeedf032
	v_pk_add_f32 v[16:17], v[16:17], v[26:27]
	v_pk_mul_f32 v[26:27], v[34:35], s[38:39] op_sel_hi:[1,0]
	v_pk_mul_f32 v[46:47], v[68:69], s[22:23] op_sel:[1,0] op_sel_hi:[0,0]
	v_pk_fma_f32 v[132:133], v[32:33], s[28:29], v[26:27] op_sel:[0,0,1] op_sel_hi:[1,0,0]
	v_pk_fma_f32 v[130:131], v[32:33], s[28:29], v[26:27] op_sel:[0,0,1] op_sel_hi:[1,0,0] neg_lo:[0,0,1] neg_hi:[0,0,1]
	v_mov_b32_e32 v26, v132
	v_mov_b32_e32 v27, v131
	v_pk_fma_f32 v[140:141], v[36:37], s[6:7], v[46:47] op_sel_hi:[1,0,1]
	v_pk_fma_f32 v[138:139], v[36:37], s[6:7], v[46:47] op_sel_hi:[1,0,1] neg_lo:[0,0,1] neg_hi:[0,0,1]
	v_pk_add_f32 v[26:27], v[26:27], v[0:1]
	v_mov_b32_e32 v46, v140
	v_mov_b32_e32 v47, v139
	v_pk_add_f32 v[26:27], v[46:47], v[26:27]
	v_pk_mul_f32 v[46:47], v[70:71], s[10:11] op_sel:[1,0] op_sel_hi:[0,0]
	v_pk_fma_f32 v[142:143], v[24:25], s[4:5], v[46:47] op_sel_hi:[1,0,1]
	v_pk_fma_f32 v[144:145], v[24:25], s[4:5], v[46:47] op_sel_hi:[1,0,1] neg_lo:[0,0,1] neg_hi:[0,0,1]
	v_mov_b32_e32 v46, v142
	v_mov_b32_e32 v47, v145
	v_pk_add_f32 v[26:27], v[46:47], v[26:27]
	v_pk_mul_f32 v[46:47], v[104:105], s[16:17] op_sel:[1,0] op_sel_hi:[0,0]
	v_pk_fma_f32 v[146:147], v[40:41], s[14:15], v[46:47] op_sel_hi:[1,0,1]
	v_pk_fma_f32 v[148:149], v[40:41], s[14:15], v[46:47] op_sel_hi:[1,0,1] neg_lo:[0,0,1] neg_hi:[0,0,1]
	;; [unrolled: 6-line block ×4, first 2 shown]
	v_mov_b32_e32 v46, v154
	v_mov_b32_e32 v47, v157
	v_pk_add_f32 v[46:47], v[46:47], v[26:27]
	v_pk_mul_f32 v[26:27], v[34:35], s[16:17] op_sel_hi:[1,0]
	v_pk_mul_f32 v[112:113], v[68:69], s[36:37] op_sel:[1,0] op_sel_hi:[0,0]
	v_pk_fma_f32 v[106:107], v[32:33], s[14:15], v[26:27] op_sel:[0,0,1] op_sel_hi:[1,0,0]
	v_pk_fma_f32 v[108:109], v[32:33], s[14:15], v[26:27] op_sel:[0,0,1] op_sel_hi:[1,0,0] neg_lo:[0,0,1] neg_hi:[0,0,1]
	v_mov_b32_e32 v26, v106
	v_mov_b32_e32 v27, v109
	v_pk_fma_f32 v[110:111], v[36:37], s[24:25], v[112:113] op_sel_hi:[1,0,1]
	v_pk_fma_f32 v[112:113], v[36:37], s[24:25], v[112:113] op_sel_hi:[1,0,1] neg_lo:[0,0,1] neg_hi:[0,0,1]
	v_mov_b32_e32 v118, v110
	v_mov_b32_e32 v119, v113
	v_pk_add_f32 v[26:27], v[26:27], v[0:1]
	v_pk_mul_f32 v[120:121], v[70:71], s[30:31] op_sel:[1,0] op_sel_hi:[0,0]
	v_pk_add_f32 v[26:27], v[118:119], v[26:27]
	v_pk_fma_f32 v[118:119], v[24:25], s[28:29], v[120:121] op_sel_hi:[1,0,1]
	v_pk_fma_f32 v[120:121], v[24:25], s[28:29], v[120:121] op_sel_hi:[1,0,1] neg_lo:[0,0,1] neg_hi:[0,0,1]
	v_mov_b32_e32 v122, v118
	v_mov_b32_e32 v123, v121
	v_pk_mul_f32 v[124:125], v[104:105], s[10:11] op_sel:[1,0] op_sel_hi:[0,0]
	v_pk_add_f32 v[26:27], v[122:123], v[26:27]
	v_pk_fma_f32 v[122:123], v[40:41], s[4:5], v[124:125] op_sel_hi:[1,0,1]
	v_pk_fma_f32 v[124:125], v[40:41], s[4:5], v[124:125] op_sel_hi:[1,0,1] neg_lo:[0,0,1] neg_hi:[0,0,1]
	s_mov_b32 s38, 0x3e750f2a
	v_mov_b32_e32 v126, v122
	v_mov_b32_e32 v127, v125
	v_pk_mul_f32 v[128:129], v[114:115], s[38:39] op_sel:[1,0] op_sel_hi:[0,0]
	v_pk_add_f32 v[26:27], v[126:127], v[26:27]
	v_pk_fma_f32 v[126:127], v[48:49], s[18:19], v[128:129] op_sel_hi:[1,0,1]
	v_pk_fma_f32 v[128:129], v[48:49], s[18:19], v[128:129] op_sel_hi:[1,0,1] neg_lo:[0,0,1] neg_hi:[0,0,1]
	s_load_dwordx2 s[10:11], s[0:1], 0x8
	s_mov_b32 s36, 0x3f52af12
	v_mov_b32_e32 v134, v126
	v_mov_b32_e32 v135, v129
	v_pk_mul_f32 v[136:137], v[116:117], s[36:37] op_sel:[1,0] op_sel_hi:[0,0]
	v_pk_add_f32 v[26:27], v[134:135], v[26:27]
	v_pk_fma_f32 v[134:135], v[50:51], s[6:7], v[136:137] op_sel_hi:[1,0,1]
	v_pk_fma_f32 v[136:137], v[50:51], s[6:7], v[136:137] op_sel_hi:[1,0,1] neg_lo:[0,0,1] neg_hi:[0,0,1]
	v_mov_b32_e32 v160, v134
	v_mov_b32_e32 v161, v137
	v_pk_add_f32 v[26:27], v[160:161], v[26:27]
	s_waitcnt lgkmcnt(0)
	; wave barrier
	s_waitcnt lgkmcnt(0)
	s_and_saveexec_b64 s[0:1], vcc
	s_cbranch_execz .LBB0_7
; %bb.6:
	v_pk_add_f32 v[2:3], v[2:3], v[0:1]
	v_mov_b32_e32 v131, v133
	v_pk_add_f32 v[2:3], v[20:21], v[2:3]
	v_mov_b32_e32 v139, v141
	;; [unrolled: 2-line block ×5, first 2 shown]
	v_pk_add_f32 v[2:3], v[4:5], v[2:3]
	v_mul_lo_u16_e32 v20, 13, v42
	v_pk_add_f32 v[2:3], v[6:7], v[2:3]
	v_mov_b32_e32 v157, v155
	v_pk_add_f32 v[2:3], v[12:13], v[2:3]
	v_mov_b32_e32 v5, v68
	v_pk_add_f32 v[2:3], v[14:15], v[2:3]
	v_pk_add_f32 v[14:15], v[130:131], v[0:1]
	;; [unrolled: 1-line block ×6, first 2 shown]
	v_mov_b32_e32 v53, v59
	v_pk_add_f32 v[14:15], v[148:149], v[14:15]
	v_pk_add_f32 v[2:3], v[38:39], v[2:3]
	;; [unrolled: 1-line block ×3, first 2 shown]
	v_add_lshl_u32 v68, v158, v20, 3
	v_pk_add_f32 v[14:15], v[156:157], v[14:15]
	v_mov_b32_e32 v57, v55
	ds_write2_b64 v68, v[2:3], v[14:15] offset1:1
	v_pk_add_f32 v[2:3], v[56:57], v[0:1]
	v_mov_b32_e32 v67, v65
	v_pk_add_f32 v[14:15], v[52:53], v[0:1]
	v_mov_b32_e32 v63, v61
	v_pk_add_f32 v[2:3], v[66:67], v[2:3]
	v_mov_b32_e32 v79, v77
	v_pk_add_f32 v[14:15], v[62:63], v[14:15]
	v_mov_b32_e32 v75, v73
	v_pk_add_f32 v[2:3], v[78:79], v[2:3]
	v_mov_b32_e32 v87, v85
	v_pk_add_f32 v[14:15], v[74:75], v[14:15]
	v_mov_b32_e32 v83, v81
	v_pk_add_f32 v[2:3], v[86:87], v[2:3]
	v_mov_b32_e32 v95, v93
	v_pk_add_f32 v[14:15], v[82:83], v[14:15]
	v_mov_b32_e32 v91, v89
	v_pk_add_f32 v[2:3], v[94:95], v[2:3]
	v_mov_b32_e32 v103, v101
	v_pk_add_f32 v[14:15], v[90:91], v[14:15]
	v_mov_b32_e32 v99, v97
	v_pk_add_f32 v[2:3], v[102:103], v[2:3]
	v_pk_add_f32 v[14:15], v[98:99], v[14:15]
	v_mov_b32_e32 v4, v69
	ds_write2_b64 v68, v[2:3], v[14:15] offset0:2 offset1:3
	v_pk_mul_f32 v[14:15], v[34:35], s[34:35] op_sel_hi:[1,0]
	v_pk_mul_f32 v[20:21], v[4:5], s[26:27] op_sel_hi:[1,0]
	v_pk_fma_f32 v[52:53], v[32:33], s[24:25], v[14:15] op_sel:[0,0,1] op_sel_hi:[1,0,0] neg_lo:[0,0,1] neg_hi:[0,0,1]
	v_pk_fma_f32 v[14:15], v[32:33], s[24:25], v[14:15] op_sel:[0,0,1] op_sel_hi:[1,0,0]
	v_mov_b32_e32 v6, v71
	v_mov_b32_e32 v7, v70
	;; [unrolled: 1-line block ×4, first 2 shown]
	v_pk_fma_f32 v[56:57], v[36:37], s[4:5], v[20:21] op_sel_hi:[1,0,1] neg_lo:[0,0,1] neg_hi:[0,0,1]
	v_pk_fma_f32 v[20:21], v[36:37], s[4:5], v[20:21] op_sel_hi:[1,0,1]
	v_pk_mul_f32 v[22:23], v[6:7], s[22:23] op_sel_hi:[1,0]
	v_pk_add_f32 v[54:55], v[54:55], v[0:1]
	v_mov_b32_e32 v58, v56
	v_mov_b32_e32 v59, v21
	;; [unrolled: 1-line block ×4, first 2 shown]
	v_pk_add_f32 v[54:55], v[58:59], v[54:55]
	v_pk_fma_f32 v[58:59], v[24:25], s[6:7], v[22:23] op_sel_hi:[1,0,1] neg_lo:[0,0,1] neg_hi:[0,0,1]
	v_pk_fma_f32 v[22:23], v[24:25], s[6:7], v[22:23] op_sel_hi:[1,0,1]
	v_pk_mul_f32 v[28:29], v[8:9], s[38:39] op_sel_hi:[1,0]
	v_mov_b32_e32 v60, v58
	v_mov_b32_e32 v61, v23
	;; [unrolled: 1-line block ×5, first 2 shown]
	v_pk_add_f32 v[54:55], v[60:61], v[54:55]
	v_pk_fma_f32 v[60:61], v[40:41], s[18:19], v[28:29] op_sel_hi:[1,0,1] neg_lo:[0,0,1] neg_hi:[0,0,1]
	v_pk_fma_f32 v[28:29], v[40:41], s[18:19], v[28:29] op_sel_hi:[1,0,1]
	v_pk_add_f32 v[2:3], v[108:109], v[0:1]
	v_mov_b32_e32 v113, v111
	v_pk_mul_f32 v[30:31], v[10:11], s[30:31] op_sel_hi:[1,0]
	v_mov_b32_e32 v62, v60
	v_mov_b32_e32 v63, v29
	;; [unrolled: 1-line block ×4, first 2 shown]
	v_pk_add_f32 v[2:3], v[112:113], v[2:3]
	v_mov_b32_e32 v121, v119
	v_pk_add_f32 v[54:55], v[62:63], v[54:55]
	v_pk_fma_f32 v[62:63], v[48:49], s[28:29], v[30:31] op_sel_hi:[1,0,1] neg_lo:[0,0,1] neg_hi:[0,0,1]
	v_pk_fma_f32 v[30:31], v[48:49], s[28:29], v[30:31] op_sel_hi:[1,0,1]
	v_pk_add_f32 v[2:3], v[120:121], v[2:3]
	v_mov_b32_e32 v125, v123
	v_pk_mul_f32 v[38:39], v[12:13], s[16:17] op_sel_hi:[1,0]
	v_mov_b32_e32 v64, v62
	v_mov_b32_e32 v65, v31
	v_pk_add_f32 v[2:3], v[124:125], v[2:3]
	v_mov_b32_e32 v129, v127
	v_pk_add_f32 v[54:55], v[64:65], v[54:55]
	v_pk_fma_f32 v[64:65], v[50:51], s[14:15], v[38:39] op_sel_hi:[1,0,1] neg_lo:[0,0,1] neg_hi:[0,0,1]
	v_pk_fma_f32 v[38:39], v[50:51], s[14:15], v[38:39] op_sel_hi:[1,0,1]
	v_pk_add_f32 v[2:3], v[128:129], v[2:3]
	v_mov_b32_e32 v137, v135
	v_mov_b32_e32 v66, v64
	;; [unrolled: 1-line block ×3, first 2 shown]
	v_pk_add_f32 v[2:3], v[136:137], v[2:3]
	v_pk_add_f32 v[54:55], v[66:67], v[54:55]
	ds_write2_b64 v68, v[2:3], v[54:55] offset0:4 offset1:5
	v_pk_mul_f32 v[2:3], v[34:35], s[20:21] op_sel_hi:[1,0]
	v_pk_mul_f32 v[4:5], v[4:5], s[30:31] op_sel_hi:[1,0]
	v_pk_fma_f32 v[34:35], v[32:33], s[18:19], v[2:3] op_sel:[0,0,1] op_sel_hi:[1,0,0] neg_lo:[0,0,1] neg_hi:[0,0,1]
	v_pk_fma_f32 v[2:3], v[32:33], s[18:19], v[2:3] op_sel:[0,0,1] op_sel_hi:[1,0,0]
	v_mov_b32_e32 v32, v34
	v_mov_b32_e32 v33, v3
	v_pk_fma_f32 v[54:55], v[36:37], s[28:29], v[4:5] op_sel_hi:[1,0,1] neg_lo:[0,0,1] neg_hi:[0,0,1]
	v_pk_fma_f32 v[4:5], v[36:37], s[28:29], v[4:5] op_sel_hi:[1,0,1]
	v_pk_add_f32 v[32:33], v[32:33], v[0:1]
	v_mov_b32_e32 v36, v54
	v_mov_b32_e32 v37, v5
	v_pk_mul_f32 v[6:7], v[6:7], s[34:35] op_sel_hi:[1,0]
	v_pk_add_f32 v[32:33], v[36:37], v[32:33]
	v_pk_fma_f32 v[36:37], v[24:25], s[24:25], v[6:7] op_sel_hi:[1,0,1] neg_lo:[0,0,1] neg_hi:[0,0,1]
	v_pk_fma_f32 v[6:7], v[24:25], s[24:25], v[6:7] op_sel_hi:[1,0,1]
	v_mov_b32_e32 v24, v36
	v_mov_b32_e32 v25, v7
	v_pk_mul_f32 v[8:9], v[8:9], s[36:37] op_sel_hi:[1,0]
	v_pk_add_f32 v[24:25], v[24:25], v[32:33]
	v_pk_fma_f32 v[32:33], v[40:41], s[6:7], v[8:9] op_sel_hi:[1,0,1] neg_lo:[0,0,1] neg_hi:[0,0,1]
	v_pk_fma_f32 v[8:9], v[40:41], s[6:7], v[8:9] op_sel_hi:[1,0,1]
	v_mov_b32_e32 v3, v35
	v_mov_b32_e32 v15, v53
	;; [unrolled: 1-line block ×4, first 2 shown]
	v_pk_mul_f32 v[10:11], v[10:11], s[16:17] op_sel_hi:[1,0]
	v_pk_add_f32 v[2:3], v[2:3], v[0:1]
	v_mov_b32_e32 v5, v55
	v_pk_add_f32 v[0:1], v[14:15], v[0:1]
	v_mov_b32_e32 v21, v57
	v_pk_add_f32 v[24:25], v[40:41], v[24:25]
	v_pk_fma_f32 v[40:41], v[48:49], s[14:15], v[10:11] op_sel_hi:[1,0,1] neg_lo:[0,0,1] neg_hi:[0,0,1]
	v_pk_fma_f32 v[10:11], v[48:49], s[14:15], v[10:11] op_sel_hi:[1,0,1]
	v_pk_add_f32 v[2:3], v[4:5], v[2:3]
	v_mov_b32_e32 v7, v37
	v_pk_add_f32 v[0:1], v[20:21], v[0:1]
	v_mov_b32_e32 v23, v59
	v_mov_b32_e32 v48, v40
	;; [unrolled: 1-line block ×3, first 2 shown]
	v_pk_mul_f32 v[12:13], v[12:13], s[26:27] op_sel_hi:[1,0]
	v_pk_add_f32 v[2:3], v[6:7], v[2:3]
	v_mov_b32_e32 v9, v33
	v_pk_add_f32 v[0:1], v[22:23], v[0:1]
	v_mov_b32_e32 v29, v61
	v_pk_add_f32 v[24:25], v[48:49], v[24:25]
	v_pk_fma_f32 v[48:49], v[50:51], s[4:5], v[12:13] op_sel_hi:[1,0,1] neg_lo:[0,0,1] neg_hi:[0,0,1]
	v_pk_fma_f32 v[12:13], v[50:51], s[4:5], v[12:13] op_sel_hi:[1,0,1]
	v_pk_add_f32 v[2:3], v[8:9], v[2:3]
	v_mov_b32_e32 v11, v41
	v_pk_add_f32 v[0:1], v[28:29], v[0:1]
	v_mov_b32_e32 v31, v63
	v_mov_b32_e32 v50, v48
	;; [unrolled: 1-line block ×3, first 2 shown]
	v_pk_add_f32 v[2:3], v[10:11], v[2:3]
	v_mov_b32_e32 v13, v49
	v_pk_add_f32 v[0:1], v[30:31], v[0:1]
	v_mov_b32_e32 v39, v65
	v_pk_add_f32 v[24:25], v[50:51], v[24:25]
	v_pk_add_f32 v[2:3], v[12:13], v[2:3]
	;; [unrolled: 1-line block ×3, first 2 shown]
	ds_write2_b64 v68, v[24:25], v[2:3] offset0:6 offset1:7
	ds_write2_b64 v68, v[0:1], v[26:27] offset0:8 offset1:9
	;; [unrolled: 1-line block ×3, first 2 shown]
	ds_write_b64 v68, v[46:47] offset:96
.LBB0_7:
	s_or_b64 exec, exec, s[0:1]
	v_lshl_add_u64 v[32:33], v[42:43], 0, -13
	v_cmp_gt_u16_e64 s[0:1], 13, v42
	s_load_dwordx4 s[4:7], s[2:3], 0x0
	s_waitcnt lgkmcnt(0)
	v_cndmask_b32_e64 v25, v33, 0, s[0:1]
	v_cndmask_b32_e64 v24, v32, v42, s[0:1]
	v_lshlrev_b64 v[0:1], 6, v[24:25]
	v_lshl_add_u64 v[20:21], s[10:11], 0, v[0:1]
	; wave barrier
	global_load_dwordx4 v[4:7], v[20:21], off offset:16
	global_load_dwordx4 v[0:3], v[20:21], off offset:32
	global_load_dwordx4 v[12:15], v[20:21], off
	global_load_dwordx4 v[8:11], v[20:21], off offset:48
	v_add_lshl_u32 v134, v158, v42, 3
	ds_read2_b64 v[20:23], v134 offset1:26
	ds_read2_b64 v[28:31], v134 offset0:52 offset1:78
	ds_read2_b64 v[34:37], v134 offset0:156 offset1:182
	ds_read_b64 v[48:49], v134 offset:1664
	ds_read2_b64 v[38:41], v134 offset0:104 offset1:130
	v_mov_b32_e32 v25, 0x75
	v_cmp_lt_u16_e64 s[2:3], 12, v42
	s_waitcnt lgkmcnt(2)
	v_mov_b32_e32 v51, v34
	v_mov_b32_e32 v52, v28
	v_cndmask_b32_e64 v25, 0, v25, s[2:3]
	v_add_u32_e32 v24, v24, v25
	v_mov_b32_e32 v25, v30
	v_add_lshl_u32 v135, v158, v24, 3
	v_mov_b32_e32 v53, v23
	v_mov_b32_e32 v28, v29
	;; [unrolled: 1-line block ×3, first 2 shown]
	s_waitcnt lgkmcnt(1)
	v_mov_b32_e32 v22, v48
	v_mov_b32_e32 v23, v37
	;; [unrolled: 1-line block ×4, first 2 shown]
	s_mov_b32 s14, 0x3f248dbb
	s_mov_b32 s15, 0x3f7c1c5c
	s_mov_b32 s2, s15
	s_mov_b32 s3, s14
	s_mov_b32 s16, 0x3eaf1d44
	s_mov_b32 s18, 0x3f441b7d
	s_mov_b32 s20, 0x3e31d0d4
	s_mov_b32 s22, 0x3f708fb2
	s_waitcnt lgkmcnt(0)
	; wave barrier
	s_waitcnt lgkmcnt(0)
	s_mov_b32 s24, s15
	s_waitcnt vmcnt(3)
	v_pk_mul_f32 v[24:25], v[24:25], v[4:5]
	v_pk_mul_f32 v[36:37], v[30:31], v[4:5]
	s_waitcnt vmcnt(2)
	v_pk_mul_f32 v[56:57], v[34:35], v[2:3]
	v_mov_b32_e32 v59, v2
	v_pk_mul_f32 v[50:51], v[50:51], v[2:3]
	v_mov_b32_e32 v24, v7
	v_pk_mul_f32 v[60:61], v[40:41], v[0:1] op_sel:[0,1]
	s_waitcnt vmcnt(1)
	v_mov_b32_e32 v64, v15
	v_mov_b32_e32 v65, v13
	s_waitcnt vmcnt(0)
	v_mov_b32_e32 v68, v11
	v_mov_b32_e32 v69, v9
	v_mov_b32_e32 v55, v4
	v_mov_b32_e32 v62, v14
	v_mov_b32_e32 v63, v12
	v_mov_b32_e32 v66, v10
	v_mov_b32_e32 v67, v8
	v_mov_b32_e32 v36, v37
	v_mov_b32_e32 v50, v57
	v_pk_mul_f32 v[56:57], v[34:35], v[58:59]
	v_pk_mul_f32 v[58:59], v[38:39], v[24:25] op_sel_hi:[1,0]
	v_pk_fma_f32 v[70:71], v[40:41], v[0:1], v[60:61] op_sel:[0,0,1] op_sel_hi:[1,1,0] neg_lo:[0,0,1] neg_hi:[0,0,1]
	v_pk_fma_f32 v[40:41], v[40:41], v[0:1], v[60:61] op_sel:[0,0,1] op_sel_hi:[1,0,0]
	v_pk_mul_f32 v[60:61], v[28:29], v[64:65]
	v_pk_mul_f32 v[64:65], v[52:53], v[64:65]
	v_pk_mul_f32 v[72:73], v[48:49], v[68:69]
	v_pk_mul_f32 v[68:69], v[22:23], v[68:69]
	v_pk_mul_f32 v[54:55], v[30:31], v[54:55]
	v_pk_fma_f32 v[30:31], v[30:31], v[4:5], v[36:37] neg_lo:[0,0,1] neg_hi:[0,0,1]
	v_pk_fma_f32 v[36:37], v[38:39], v[6:7], v[58:59] op_sel:[0,0,1] op_sel_hi:[1,1,0] neg_lo:[0,0,1] neg_hi:[0,0,1]
	v_pk_fma_f32 v[38:39], v[38:39], v[6:7], v[58:59] op_sel:[0,0,1] op_sel_hi:[1,0,0]
	v_mov_b32_e32 v71, v41
	v_pk_fma_f32 v[40:41], v[52:53], v[62:63], v[60:61]
	v_pk_fma_f32 v[52:53], v[52:53], v[62:63], v[60:61] neg_lo:[0,0,1] neg_hi:[0,0,1]
	v_pk_fma_f32 v[58:59], v[28:29], v[14:15], v[64:65]
	v_pk_fma_f32 v[28:29], v[28:29], v[62:63], v[64:65] neg_lo:[0,0,1] neg_hi:[0,0,1]
	;; [unrolled: 2-line block ×4, first 2 shown]
	v_mov_b32_e32 v38, v41
	v_mov_b32_e32 v59, v29
	;; [unrolled: 1-line block ×8, first 2 shown]
	v_pk_fma_f32 v[34:35], v[34:35], v[2:3], v[50:51] neg_lo:[0,0,1] neg_hi:[0,0,1]
	v_mov_b32_e32 v37, v39
	v_mov_b32_e32 v39, v52
	;; [unrolled: 1-line block ×3, first 2 shown]
	v_pk_add_f32 v[64:65], v[58:59], v[40:41]
	v_pk_add_f32 v[40:41], v[58:59], v[40:41] neg_lo:[0,1] neg_hi:[0,1]
	v_pk_add_f32 v[22:23], v[56:57], v[22:23]
	v_pk_add_f32 v[24:25], v[52:53], v[24:25]
	;; [unrolled: 1-line block ×3, first 2 shown]
	v_pk_add_f32 v[38:39], v[38:39], v[62:63] neg_lo:[0,1] neg_hi:[0,1]
	v_pk_mul_f32 v[58:59], v[40:41], s[2:3]
	v_mov_b32_e32 v28, v25
	v_mov_b32_e32 v29, v30
	;; [unrolled: 1-line block ×4, first 2 shown]
	v_pk_fma_f32 v[58:59], v[38:39], s[14:15], v[58:59]
	v_pk_add_f32 v[28:29], v[28:29], v[48:49] neg_lo:[0,1] neg_hi:[0,1]
	s_mov_b32 s2, 0x3f5db3d7
	v_pk_add_f32 v[50:51], v[36:37], v[70:71] neg_lo:[0,1] neg_hi:[0,1]
	v_pk_fma_f32 v[48:49], v[28:29], s[2:3], v[58:59] op_sel_hi:[1,0,1]
	v_pk_mul_f32 v[52:53], v[50:51], s[16:17] op_sel_hi:[1,0]
	v_mov_b32_e32 v31, v64
	v_pk_add_f32 v[48:49], v[52:53], v[48:49] op_sel:[1,0] op_sel_hi:[0,1]
	v_mov_b32_e32 v52, v22
	v_mov_b32_e32 v53, v60
	;; [unrolled: 1-line block ×3, first 2 shown]
	v_pk_fma_f32 v[54:55], v[52:53], s[18:19], v[20:21] op_sel_hi:[1,0,1]
	v_mov_b32_e32 v56, v24
	v_mov_b32_e32 v57, v64
	v_pk_add_f32 v[30:31], v[30:31], v[34:35]
	v_pk_add_f32 v[22:23], v[24:25], v[22:23]
	v_pk_fma_f32 v[54:55], v[56:57], s[20:21], v[54:55] op_sel_hi:[1,0,1]
	v_mov_b32_e32 v24, v30
	v_mov_b32_e32 v25, v23
	v_pk_fma_f32 v[34:35], v[24:25], 0.5, v[54:55] op_sel_hi:[1,0,1] neg_lo:[1,0,0] neg_hi:[1,0,0]
	v_pk_add_f32 v[54:55], v[36:37], v[70:71]
	v_pk_add_f32 v[60:61], v[22:23], v[30:31]
	v_pk_fma_f32 v[34:35], v[54:55], s[22:23], v[34:35] op_sel_hi:[1,0,1] neg_lo:[1,0,0] neg_hi:[1,0,0]
	v_pk_add_f32 v[36:37], v[36:37], v[60:61]
	v_pk_add_f32 v[58:59], v[34:35], v[48:49]
	v_pk_add_f32 v[34:35], v[34:35], v[48:49] neg_lo:[0,1] neg_hi:[0,1]
	v_pk_add_f32 v[36:37], v[70:71], v[36:37]
	v_mov_b32_e32 v59, v35
	v_pk_add_f32 v[36:37], v[36:37], v[20:21]
	ds_write2_b64 v135, v[36:37], v[58:59] offset1:13
	v_mov_b32_e32 v36, v38
	v_mov_b32_e32 v37, v41
	v_pk_mul_f32 v[62:63], v[50:51], s[14:15] op_sel_hi:[1,0]
	v_pk_fma_f32 v[64:65], v[54:55], s[18:19], v[20:21] op_sel_hi:[1,0,1]
	v_pk_fma_f32 v[62:63], v[36:37], s[24:25], v[62:63] op_sel:[0,0,1] op_sel_hi:[1,0,0] neg_lo:[0,0,1] neg_hi:[0,0,1]
	v_pk_fma_f32 v[64:65], v[52:53], s[20:21], v[64:65] op_sel_hi:[1,0,1]
	v_mov_b32_e32 v60, v40
	v_mov_b32_e32 v61, v39
	v_pk_fma_f32 v[62:63], v[28:29], s[2:3], v[62:63] op_sel_hi:[1,0,1] neg_lo:[1,0,0] neg_hi:[1,0,0]
	v_pk_fma_f32 v[64:65], v[24:25], 0.5, v[64:65] op_sel_hi:[1,0,1] neg_lo:[1,0,0] neg_hi:[1,0,0]
	v_pk_fma_f32 v[62:63], v[60:61], s[16:17], v[62:63] op_sel_hi:[1,0,1]
	v_pk_fma_f32 v[64:65], v[56:57], s[22:23], v[64:65] op_sel_hi:[1,0,1] neg_lo:[1,0,0] neg_hi:[1,0,0]
	v_mov_b32_e32 v23, v31
	v_pk_add_f32 v[66:67], v[64:65], v[62:63]
	v_pk_add_f32 v[64:65], v[64:65], v[62:63] neg_lo:[0,1] neg_hi:[0,1]
	v_pk_add_f32 v[22:23], v[54:55], v[22:23]
	v_fma_f32 v64, -2.0, v62, v66
	v_mov_b32_e32 v67, v65
	v_fmac_f32_e32 v65, 2.0, v63
	v_mov_b32_e32 v62, v41
	v_mov_b32_e32 v63, v38
	v_pk_add_f32 v[62:63], v[50:51], v[62:63]
	v_mov_b32_e32 v38, v39
	v_mov_b32_e32 v39, v40
	v_pk_add_f32 v[38:39], v[62:63], v[38:39] neg_lo:[0,1] neg_hi:[0,1]
	v_pk_add_f32 v[40:41], v[24:25], v[20:21]
	v_pk_mul_f32 v[38:39], v[38:39], s[2:3] op_sel_hi:[1,0]
	v_pk_fma_f32 v[22:23], v[22:23], 0.5, v[40:41] op_sel_hi:[1,0,1] neg_lo:[1,0,0] neg_hi:[1,0,0]
	s_mov_b32 s14, 0xbf248dbb
	v_pk_add_f32 v[30:31], v[22:23], v[38:39] op_sel:[0,1] op_sel_hi:[1,0]
	v_pk_add_f32 v[22:23], v[22:23], v[38:39] op_sel:[0,1] op_sel_hi:[1,0] neg_lo:[0,1] neg_hi:[0,1]
	v_pk_fma_f32 v[20:21], v[56:57], s[18:19], v[20:21] op_sel_hi:[1,0,1]
	v_mov_b32_e32 v31, v23
	v_fma_f32 v22, -2.0, v39, v30
	ds_write2_b64 v135, v[66:67], v[30:31] offset0:26 offset1:39
	v_pk_mul_f32 v[30:31], v[50:51], s[24:25] op_sel_hi:[1,0]
	v_pk_fma_f32 v[20:21], v[54:55], s[20:21], v[20:21] op_sel_hi:[1,0,1]
	v_pk_fma_f32 v[30:31], v[60:61], s[14:15], v[30:31] op_sel:[0,0,1] op_sel_hi:[1,0,0] neg_lo:[0,0,1] neg_hi:[0,0,1]
	v_pk_fma_f32 v[20:21], v[24:25], 0.5, v[20:21] op_sel_hi:[1,0,1] neg_lo:[1,0,0] neg_hi:[1,0,0]
	v_pk_fma_f32 v[28:29], v[28:29], s[2:3], v[30:31] op_sel_hi:[1,0,1]
	v_pk_fma_f32 v[20:21], v[52:53], s[22:23], v[20:21] op_sel_hi:[1,0,1] neg_lo:[1,0,0] neg_hi:[1,0,0]
	v_pk_fma_f32 v[28:29], v[36:37], s[16:17], v[28:29] op_sel_hi:[1,0,1]
	v_add_f32_e32 v34, v48, v48
	v_pk_add_f32 v[24:25], v[20:21], v[28:29]
	v_pk_add_f32 v[20:21], v[20:21], v[28:29] neg_lo:[0,1] neg_hi:[0,1]
	v_add_f32_e32 v49, v49, v49
	v_fma_f32 v20, -2.0, v28, v24
	v_mov_b32_e32 v25, v21
	v_fmac_f32_e32 v21, 2.0, v29
	v_mov_b32_e32 v48, v58
	v_fmac_f32_e32 v23, 2.0, v38
	ds_write2_b64 v135, v[24:25], v[20:21] offset0:52 offset1:65
	ds_write2_b64 v135, v[22:23], v[64:65] offset0:78 offset1:91
	v_pk_add_f32 v[24:25], v[58:59], v[34:35] neg_lo:[0,1] neg_hi:[0,1]
	v_pk_add_f32 v[58:59], v[48:49], v[58:59]
	s_nop 0
	v_mov_b32_e32 v25, v59
	ds_write_b64 v135, v[24:25] offset:832
	s_waitcnt lgkmcnt(0)
	; wave barrier
	s_waitcnt lgkmcnt(0)
	ds_read2_b64 v[34:37], v134 offset1:26
	ds_read2_b64 v[28:31], v134 offset0:117 offset1:143
	ds_read2_b64 v[38:41], v134 offset0:52 offset1:78
	;; [unrolled: 1-line block ×3, first 2 shown]
	s_and_saveexec_b64 s[2:3], s[0:1]
	s_cbranch_execz .LBB0_9
; %bb.8:
	ds_read2_b64 v[24:27], v134 offset0:104 offset1:221
	s_mov_b64 s[14:15], 0x68
	v_lshl_add_u64 v[32:33], v[42:43], 0, s[14:15]
	s_waitcnt lgkmcnt(0)
	v_mov_b32_e32 v59, v25
.LBB0_9:
	s_or_b64 exec, exec, s[2:3]
	global_load_dwordx2 v[50:51], v45, s[10:11] offset:1248
	global_load_dwordx2 v[54:55], v45, s[10:11] offset:832
	;; [unrolled: 1-line block ×4, first 2 shown]
	v_lshl_add_u64 v[32:33], v[32:33], 3, s[10:11]
	global_load_dwordx2 v[48:49], v[32:33], off offset:832
	v_mov_b32_e32 v25, v59
	v_lshl_add_u32 v43, v42, 3, v159
	v_add_u32_e32 v136, v45, v159
	s_waitcnt vmcnt(4)
	v_mov_b32_e32 v32, v51
	s_waitcnt lgkmcnt(0)
	v_pk_mul_f32 v[58:59], v[20:21], v[50:51] op_sel:[1,0] op_sel_hi:[0,1]
	s_waitcnt vmcnt(3)
	v_pk_mul_f32 v[60:61], v[28:29], v[54:55] op_sel:[0,1]
	s_waitcnt vmcnt(2)
	v_pk_mul_f32 v[62:63], v[30:31], v[52:53] op_sel:[0,1]
	;; [unrolled: 2-line block ×3, first 2 shown]
	v_pk_mul_f32 v[32:33], v[20:21], v[32:33] op_sel:[1,0] op_sel_hi:[0,1]
	v_mov_b32_e32 v59, v58
	v_pk_fma_f32 v[66:67], v[28:29], v[54:55], v[60:61] op_sel:[0,0,1] op_sel_hi:[1,1,0] neg_lo:[0,0,1] neg_hi:[0,0,1]
	v_pk_fma_f32 v[28:29], v[28:29], v[54:55], v[60:61] op_sel:[0,0,1] op_sel_hi:[1,0,0]
	v_pk_fma_f32 v[60:61], v[30:31], v[52:53], v[62:63] op_sel:[0,0,1] op_sel_hi:[1,1,0] neg_lo:[0,0,1] neg_hi:[0,0,1]
	v_pk_fma_f32 v[30:31], v[30:31], v[52:53], v[62:63] op_sel:[0,0,1] op_sel_hi:[1,0,0]
	;; [unrolled: 2-line block ×3, first 2 shown]
	s_waitcnt vmcnt(0)
	v_pk_mul_f32 v[64:65], v[26:27], v[48:49] op_sel:[1,0]
	v_pk_fma_f32 v[68:69], v[20:21], v[50:51], v[32:33] neg_lo:[0,0,1] neg_hi:[0,0,1]
	v_pk_fma_f32 v[20:21], v[20:21], v[50:51], v[58:59] op_sel:[1,0,0] op_sel_hi:[0,1,1]
	v_mov_b32_e32 v61, v31
	v_mov_b32_e32 v63, v23
	v_pk_fma_f32 v[58:59], v[26:27], v[48:49], v[64:65] op_sel:[0,0,1] op_sel_hi:[1,1,0] neg_lo:[0,0,1] neg_hi:[0,0,1]
	v_pk_fma_f32 v[26:27], v[26:27], v[48:49], v[64:65] op_sel:[0,0,1] op_sel_hi:[0,1,0]
	v_mov_b32_e32 v67, v29
	v_pk_add_f32 v[28:29], v[36:37], v[60:61] neg_lo:[0,1] neg_hi:[0,1]
	v_mov_b32_e32 v59, v27
	v_mov_b32_e32 v69, v21
	v_pk_add_f32 v[32:33], v[40:41], v[62:63] neg_lo:[0,1] neg_hi:[0,1]
	v_pk_add_f32 v[22:23], v[34:35], v[66:67] neg_lo:[0,1] neg_hi:[0,1]
	v_pk_fma_f32 v[26:27], v[36:37], 2.0, v[28:29] op_sel_hi:[1,0,1] neg_lo:[0,0,1] neg_hi:[0,0,1]
	v_pk_add_f32 v[36:37], v[38:39], v[68:69] neg_lo:[0,1] neg_hi:[0,1]
	v_pk_fma_f32 v[30:31], v[40:41], 2.0, v[32:33] op_sel_hi:[1,0,1] neg_lo:[0,0,1] neg_hi:[0,0,1]
	;; [unrolled: 2-line block ×3, first 2 shown]
	v_pk_fma_f32 v[34:35], v[38:39], 2.0, v[36:37] op_sel_hi:[1,0,1] neg_lo:[0,0,1] neg_hi:[0,0,1]
	v_pk_fma_f32 v[38:39], v[24:25], 2.0, v[40:41] op_sel_hi:[1,0,1] neg_lo:[0,0,1] neg_hi:[0,0,1]
	ds_write2_b64 v43, v[22:23], v[28:29] offset0:117 offset1:143
	ds_write2_b64 v43, v[20:21], v[26:27] offset1:26
	ds_write_b64 v43, v[34:35] offset:416
	ds_write_b64 v136, v[36:37] offset:1352
	;; [unrolled: 1-line block ×4, first 2 shown]
	s_and_saveexec_b64 s[2:3], s[0:1]
	s_cbranch_execz .LBB0_11
; %bb.10:
	ds_write2_b64 v43, v[38:39], v[40:41] offset0:104 offset1:221
.LBB0_11:
	s_or_b64 exec, exec, s[2:3]
	s_waitcnt lgkmcnt(0)
	; wave barrier
	s_waitcnt lgkmcnt(0)
	s_and_saveexec_b64 s[2:3], vcc
	s_cbranch_execz .LBB0_13
; %bb.12:
	global_load_dwordx2 v[24:25], v45, s[8:9] offset:1872
	s_add_u32 s10, s8, 0x750
	s_addc_u32 s11, s9, 0
	global_load_dwordx2 v[82:83], v45, s[10:11] offset:144
	global_load_dwordx2 v[84:85], v45, s[10:11] offset:288
	;; [unrolled: 1-line block ×12, first 2 shown]
	ds_read2_b64 v[58:61], v43 offset1:18
	ds_read2_b64 v[62:65], v43 offset0:36 offset1:54
	ds_read2_b64 v[66:69], v43 offset0:72 offset1:90
	;; [unrolled: 1-line block ×5, first 2 shown]
	ds_read_b64 v[106:107], v43 offset:1728
	s_waitcnt vmcnt(9) lgkmcnt(5)
	v_mul_f32_e32 v110, v65, v87
	s_waitcnt vmcnt(8) lgkmcnt(4)
	v_mul_f32_e32 v111, v67, v89
	s_waitcnt vmcnt(7)
	v_mul_f32_e32 v112, v69, v91
	s_waitcnt vmcnt(6) lgkmcnt(3)
	v_mul_f32_e32 v113, v71, v93
	s_waitcnt vmcnt(5)
	v_mul_f32_e32 v114, v73, v95
	s_waitcnt vmcnt(4) lgkmcnt(2)
	v_mul_f32_e32 v115, v75, v97
	v_mul_f32_e32 v108, v59, v25
	;; [unrolled: 1-line block ×3, first 2 shown]
	v_fma_f32 v108, v58, v24, -v108
	v_fmac_f32_e32 v109, v59, v24
	v_mul_f32_e32 v24, v61, v83
	v_mul_f32_e32 v25, v60, v83
	;; [unrolled: 1-line block ×10, first 2 shown]
	s_waitcnt vmcnt(3)
	v_mul_f32_e32 v116, v77, v99
	v_mul_f32_e32 v95, v76, v99
	s_waitcnt vmcnt(2) lgkmcnt(1)
	v_mul_f32_e32 v117, v79, v101
	v_mul_f32_e32 v97, v78, v101
	s_waitcnt vmcnt(1)
	v_mul_f32_e32 v118, v81, v103
	v_mul_f32_e32 v99, v80, v103
	s_waitcnt vmcnt(0) lgkmcnt(0)
	v_mul_f32_e32 v103, v107, v105
	v_mul_f32_e32 v101, v106, v105
	v_fma_f32 v24, v60, v82, -v24
	v_fmac_f32_e32 v25, v61, v82
	v_fma_f32 v58, v62, v84, -v58
	v_fmac_f32_e32 v59, v63, v84
	;; [unrolled: 2-line block ×12, first 2 shown]
	ds_write2_b64 v43, v[108:109], v[24:25] offset1:18
	ds_write2_b64 v43, v[58:59], v[82:83] offset0:36 offset1:54
	ds_write2_b64 v43, v[84:85], v[86:87] offset0:72 offset1:90
	;; [unrolled: 1-line block ×5, first 2 shown]
	ds_write_b64 v43, v[100:101] offset:1728
.LBB0_13:
	s_or_b64 exec, exec, s[2:3]
	s_waitcnt lgkmcnt(0)
	; wave barrier
	s_waitcnt lgkmcnt(0)
	s_and_saveexec_b64 s[2:3], vcc
	s_cbranch_execz .LBB0_15
; %bb.14:
	ds_read2_b64 v[20:23], v43 offset1:18
	ds_read2_b64 v[26:29], v43 offset0:36 offset1:54
	ds_read2_b64 v[34:37], v43 offset0:72 offset1:90
	;; [unrolled: 1-line block ×5, first 2 shown]
	ds_read_b64 v[46:47], v43 offset:1728
.LBB0_15:
	s_or_b64 exec, exec, s[2:3]
	s_waitcnt lgkmcnt(0)
	v_pk_add_f32 v[24:25], v[22:23], v[46:47] neg_lo:[0,1] neg_hi:[0,1]
	v_pk_add_f32 v[84:85], v[22:23], v[46:47]
	v_mov_b32_e32 v63, v24
	v_mov_b32_e32 v62, v84
	v_mov_b32_e32 v84, v25
	v_pk_add_f32 v[24:25], v[26:27], v[18:19] neg_lo:[0,1] neg_hi:[0,1]
	v_pk_add_f32 v[82:83], v[26:27], v[18:19]
	v_mov_b32_e32 v65, v24
	v_mov_b32_e32 v64, v82
	v_mov_b32_e32 v82, v25
	;; [unrolled: 5-line block ×3, first 2 shown]
	v_pk_add_f32 v[24:25], v[34:35], v[40:41] neg_lo:[0,1] neg_hi:[0,1]
	v_pk_add_f32 v[78:79], v[34:35], v[40:41]
	s_mov_b32 s28, 0xbf6f5d39
	v_mov_b32_e32 v68, v78
	v_mov_b32_e32 v69, v24
	;; [unrolled: 1-line block ×3, first 2 shown]
	v_pk_add_f32 v[24:25], v[36:37], v[38:39] neg_lo:[0,1] neg_hi:[0,1]
	v_pk_add_f32 v[76:77], v[36:37], v[38:39]
	s_mov_b32 s29, 0xbeb58ec6
	s_mov_b32 s40, 0x3f29c268
	v_mov_b32_e32 v70, v76
	v_mov_b32_e32 v71, v24
	v_mov_b32_e32 v76, v25
	v_pk_add_f32 v[24:25], v[30:31], v[32:33] neg_lo:[0,1] neg_hi:[0,1]
	v_pk_add_f32 v[74:75], v[30:31], v[32:33]
	v_pk_mul_f32 v[112:113], v[84:85], s[28:29]
	s_mov_b32 s2, s29
	s_mov_b32 s3, s28
	;; [unrolled: 1-line block ×3, first 2 shown]
	v_mov_b32_e32 v72, v74
	v_mov_b32_e32 v73, v24
	;; [unrolled: 1-line block ×3, first 2 shown]
	v_pk_fma_f32 v[24:25], v[62:63], s[2:3], v[112:113] neg_lo:[0,0,1] neg_hi:[0,0,1]
	v_pk_fma_f32 v[110:111], v[62:63], s[2:3], v[112:113]
	v_pk_mul_f32 v[114:115], v[82:83], s[40:41]
	s_mov_b32 s14, s41
	s_mov_b32 s15, s40
	s_mov_b32 s34, 0x3eedf032
	v_mov_b32_e32 v25, v111
	v_pk_fma_f32 v[86:87], v[64:65], s[14:15], v[114:115] neg_lo:[0,0,1] neg_hi:[0,0,1]
	v_pk_fma_f32 v[116:117], v[64:65], s[14:15], v[114:115]
	s_mov_b32 s35, 0x3f62ad3f
	v_pk_add_f32 v[24:25], v[20:21], v[24:25]
	v_mov_b32_e32 v87, v117
	v_pk_mul_f32 v[118:119], v[80:81], s[34:35]
	s_mov_b32 s16, s35
	s_mov_b32 s17, s34
	s_mov_b32 s44, 0xbf7e222b
	v_pk_add_f32 v[24:25], v[86:87], v[24:25]
	v_pk_fma_f32 v[86:87], v[66:67], s[16:17], v[118:119] neg_lo:[0,0,1] neg_hi:[0,0,1]
	v_pk_fma_f32 v[120:121], v[66:67], s[16:17], v[118:119]
	s_mov_b32 s45, 0x3df6dbef
	v_mov_b32_e32 v87, v121
	v_pk_mul_f32 v[124:125], v[78:79], s[44:45]
	s_mov_b32 s10, s45
	s_mov_b32 s11, s44
	s_mov_b32 s42, 0x3e750f2a
	v_pk_add_f32 v[24:25], v[86:87], v[24:25]
	v_pk_fma_f32 v[86:87], v[68:69], s[10:11], v[124:125] neg_lo:[0,0,1] neg_hi:[0,0,1]
	v_pk_fma_f32 v[122:123], v[68:69], s[10:11], v[124:125]
	s_mov_b32 s43, 0xbf788fa5
	;; [unrolled: 9-line block ×3, first 2 shown]
	v_mov_b32_e32 v87, v129
	v_pk_mul_f32 v[130:131], v[74:75], s[38:39]
	s_mov_b32 s36, s39
	s_mov_b32 s37, s38
	v_pk_add_f32 v[24:25], v[86:87], v[24:25]
	v_pk_fma_f32 v[86:87], v[72:73], s[36:37], v[130:131] neg_lo:[0,0,1] neg_hi:[0,0,1]
	v_pk_fma_f32 v[132:133], v[72:73], s[36:37], v[130:131]
	v_mov_b32_e32 v60, v6
	v_mov_b32_e32 v87, v133
	;; [unrolled: 1-line block ×7, first 2 shown]
	v_pk_add_f32 v[24:25], v[86:87], v[24:25]
	s_waitcnt lgkmcnt(0)
	; wave barrier
	s_and_saveexec_b64 s[18:19], vcc
	s_cbranch_execz .LBB0_17
; %bb.16:
	v_pk_add_f32 v[22:23], v[22:23], v[20:21]
	s_mov_b32 s21, 0xbeedf032
	v_pk_add_f32 v[22:23], v[26:27], v[22:23]
	s_mov_b32 s22, s21
	;; [unrolled: 2-line block ×3, first 2 shown]
	v_pk_add_f32 v[22:23], v[34:35], v[22:23]
	v_mul_lo_u16_e32 v86, 13, v42
	v_pk_add_f32 v[22:23], v[36:37], v[22:23]
	s_mov_b32 s20, s35
	v_pk_add_f32 v[22:23], v[30:31], v[22:23]
	v_lshl_add_u32 v137, v86, 3, v159
	v_pk_add_f32 v[22:23], v[32:33], v[22:23]
	s_mov_b32 s49, s39
	v_pk_add_f32 v[22:23], v[38:39], v[22:23]
	s_mov_b32 s25, 0xbf29c268
	;; [unrolled: 2-line block ×4, first 2 shown]
	v_pk_add_f32 v[16:17], v[18:19], v[16:17]
	v_pk_mul_f32 v[18:19], v[84:85], s[22:23]
	s_mov_b32 s23, 0xbf52af12
	v_pk_add_f32 v[86:87], v[46:47], v[16:17]
	v_pk_fma_f32 v[16:17], v[62:63], s[20:21], v[18:19]
	v_pk_fma_f32 v[22:23], v[62:63], s[20:21], v[18:19] neg_lo:[1,0,0] neg_hi:[1,0,0]
	s_mov_b32 s48, s23
	v_mov_b32_e32 v22, v16
	s_mov_b32 s22, s39
	v_pk_mul_f32 v[26:27], v[82:83], s[48:49]
	v_pk_add_f32 v[28:29], v[20:21], v[22:23]
	v_pk_fma_f32 v[22:23], v[64:65], s[22:23], v[26:27]
	v_pk_fma_f32 v[30:31], v[64:65], s[22:23], v[26:27] neg_lo:[1,0,0] neg_hi:[1,0,0]
	s_mov_b32 s24, s41
	v_mov_b32_e32 v30, v22
	v_pk_add_f32 v[32:33], v[30:31], v[28:29]
	v_pk_mul_f32 v[30:31], v[80:81], s[44:45]
	s_mov_b32 s27, 0xbe750f2a
	v_pk_fma_f32 v[28:29], v[66:67], s[10:11], v[30:31]
	v_pk_fma_f32 v[34:35], v[66:67], s[10:11], v[30:31] neg_lo:[1,0,0] neg_hi:[1,0,0]
	s_mov_b32 s50, s27
	v_mov_b32_e32 v34, v28
	v_pk_add_f32 v[36:37], v[34:35], v[32:33]
	v_pk_mul_f32 v[34:35], v[78:79], s[28:29]
	s_mov_b32 s51, s43
	v_pk_fma_f32 v[32:33], v[68:69], s[2:3], v[34:35]
	v_pk_fma_f32 v[38:39], v[68:69], s[2:3], v[34:35] neg_lo:[1,0,0] neg_hi:[1,0,0]
	s_mov_b32 s26, s43
	v_mov_b32_e32 v38, v32
	v_pk_add_f32 v[40:41], v[38:39], v[36:37]
	v_pk_mul_f32 v[38:39], v[76:77], s[46:47]
	v_pk_mul_f32 v[92:93], v[82:83], s[28:29]
	v_pk_fma_f32 v[36:37], v[70:71], s[24:25], v[38:39]
	v_pk_fma_f32 v[46:47], v[70:71], s[24:25], v[38:39] neg_lo:[1,0,0] neg_hi:[1,0,0]
	v_pk_fma_f32 v[96:97], v[64:65], s[2:3], v[92:93] neg_lo:[1,0,0] neg_hi:[1,0,0]
	v_mov_b32_e32 v46, v36
	v_pk_add_f32 v[88:89], v[46:47], v[40:41]
	v_pk_mul_f32 v[46:47], v[74:75], s[50:51]
	s_mov_b32 s53, s45
	v_pk_fma_f32 v[40:41], v[72:73], s[26:27], v[46:47]
	v_pk_fma_f32 v[90:91], v[72:73], s[26:27], v[46:47] neg_lo:[1,0,0] neg_hi:[1,0,0]
	v_pk_mul_f32 v[146:147], v[82:83], s[50:51]
	v_mov_b32_e32 v90, v40
	v_pk_add_f32 v[88:89], v[90:91], v[88:89]
	ds_write2_b64 v137, v[86:87], v[88:89] offset1:1
	v_pk_mul_f32 v[88:89], v[84:85], s[48:49]
	v_pk_fma_f32 v[148:149], v[64:65], s[26:27], v[146:147]
	v_pk_fma_f32 v[86:87], v[62:63], s[22:23], v[88:89]
	v_pk_fma_f32 v[90:91], v[62:63], s[22:23], v[88:89] neg_lo:[1,0,0] neg_hi:[1,0,0]
	v_pk_fma_f32 v[150:151], v[64:65], s[26:27], v[146:147] neg_lo:[1,0,0] neg_hi:[1,0,0]
	v_mov_b32_e32 v90, v86
	v_pk_add_f32 v[94:95], v[20:21], v[90:91]
	v_pk_fma_f32 v[90:91], v[64:65], s[2:3], v[92:93]
	v_mov_b32_e32 v150, v148
	v_mov_b32_e32 v96, v90
	v_pk_add_f32 v[98:99], v[96:97], v[94:95]
	v_pk_mul_f32 v[96:97], v[80:81], s[50:51]
	s_mov_b32 s55, s29
	v_pk_fma_f32 v[94:95], v[66:67], s[26:27], v[96:97]
	v_pk_fma_f32 v[100:101], v[66:67], s[26:27], v[96:97] neg_lo:[1,0,0] neg_hi:[1,0,0]
	v_pk_fma_f32 v[18:19], v[62:63], s[20:21], v[18:19] neg_lo:[0,0,1] neg_hi:[0,0,1]
	v_mov_b32_e32 v100, v94
	v_pk_add_f32 v[102:103], v[100:101], v[98:99]
	v_pk_mul_f32 v[100:101], v[78:79], s[40:41]
	s_mov_b32 s41, 0x3f7e222b
	v_pk_fma_f32 v[98:99], v[68:69], s[14:15], v[100:101]
	v_pk_fma_f32 v[104:105], v[68:69], s[14:15], v[100:101] neg_lo:[1,0,0] neg_hi:[1,0,0]
	s_mov_b32 s52, s41
	v_mov_b32_e32 v104, v98
	v_pk_add_f32 v[106:107], v[104:105], v[102:103]
	s_mov_b32 s40, s45
	v_pk_mul_f32 v[104:105], v[76:77], s[52:53]
	v_mov_b32_e32 v19, v17
	v_pk_fma_f32 v[102:103], v[70:71], s[40:41], v[104:105]
	v_pk_fma_f32 v[108:109], v[70:71], s[40:41], v[104:105] neg_lo:[1,0,0] neg_hi:[1,0,0]
	v_pk_add_f32 v[16:17], v[20:21], v[18:19]
	v_mov_b32_e32 v108, v102
	v_pk_add_f32 v[138:139], v[108:109], v[106:107]
	v_pk_mul_f32 v[108:109], v[74:75], s[34:35]
	v_pk_fma_f32 v[18:19], v[64:65], s[22:23], v[26:27] neg_lo:[0,0,1] neg_hi:[0,0,1]
	v_pk_fma_f32 v[106:107], v[72:73], s[16:17], v[108:109]
	v_pk_fma_f32 v[140:141], v[72:73], s[16:17], v[108:109] neg_lo:[1,0,0] neg_hi:[1,0,0]
	v_mov_b32_e32 v19, v23
	v_mov_b32_e32 v140, v106
	v_pk_add_f32 v[138:139], v[140:141], v[138:139]
	v_pk_mul_f32 v[140:141], v[84:85], s[44:45]
	s_mov_b32 s45, 0x3f6f5d39
	v_pk_fma_f32 v[142:143], v[62:63], s[10:11], v[140:141]
	v_pk_fma_f32 v[144:145], v[62:63], s[10:11], v[140:141] neg_lo:[1,0,0] neg_hi:[1,0,0]
	s_mov_b32 s54, s45
	v_mov_b32_e32 v144, v142
	v_pk_add_f32 v[144:145], v[20:21], v[144:145]
	s_mov_b32 s44, s29
	v_pk_add_f32 v[144:145], v[150:151], v[144:145]
	v_pk_mul_f32 v[150:151], v[80:81], s[54:55]
	v_pk_add_f32 v[16:17], v[18:19], v[16:17]
	v_pk_fma_f32 v[152:153], v[66:67], s[44:45], v[150:151]
	v_pk_fma_f32 v[154:155], v[66:67], s[44:45], v[150:151] neg_lo:[1,0,0] neg_hi:[1,0,0]
	v_pk_fma_f32 v[18:19], v[66:67], s[10:11], v[30:31] neg_lo:[0,0,1] neg_hi:[0,0,1]
	v_mov_b32_e32 v154, v152
	v_pk_add_f32 v[144:145], v[154:155], v[144:145]
	v_pk_mul_f32 v[154:155], v[78:79], s[34:35]
	v_mov_b32_e32 v19, v29
	v_pk_fma_f32 v[156:157], v[68:69], s[16:17], v[154:155]
	v_pk_fma_f32 v[160:161], v[68:69], s[16:17], v[154:155] neg_lo:[1,0,0] neg_hi:[1,0,0]
	v_pk_add_f32 v[16:17], v[18:19], v[16:17]
	v_mov_b32_e32 v160, v156
	v_pk_add_f32 v[144:145], v[160:161], v[144:145]
	v_pk_mul_f32 v[160:161], v[76:77], s[48:49]
	v_pk_fma_f32 v[18:19], v[68:69], s[2:3], v[34:35] neg_lo:[0,0,1] neg_hi:[0,0,1]
	v_pk_fma_f32 v[162:163], v[70:71], s[22:23], v[160:161]
	v_pk_fma_f32 v[164:165], v[70:71], s[22:23], v[160:161] neg_lo:[1,0,0] neg_hi:[1,0,0]
	v_mov_b32_e32 v19, v33
	v_mov_b32_e32 v164, v162
	v_pk_add_f32 v[144:145], v[164:165], v[144:145]
	v_pk_mul_f32 v[164:165], v[74:75], s[46:47]
	v_pk_add_f32 v[16:17], v[18:19], v[16:17]
	v_pk_fma_f32 v[166:167], v[72:73], s[24:25], v[164:165]
	v_pk_fma_f32 v[168:169], v[72:73], s[24:25], v[164:165] neg_lo:[1,0,0] neg_hi:[1,0,0]
	v_pk_fma_f32 v[18:19], v[70:71], s[24:25], v[38:39] neg_lo:[0,0,1] neg_hi:[0,0,1]
	v_mov_b32_e32 v168, v166
	v_pk_add_f32 v[144:145], v[168:169], v[144:145]
	ds_write2_b64 v137, v[138:139], v[144:145] offset0:2 offset1:3
	v_pk_mul_f32 v[138:139], v[62:63], s[2:3]
	v_mov_b32_e32 v19, v37
	v_pk_add_f32 v[112:113], v[112:113], v[138:139] neg_lo:[0,1] neg_hi:[0,1]
	v_pk_add_f32 v[16:17], v[18:19], v[16:17]
	v_mov_b32_e32 v111, v113
	v_pk_mul_f32 v[112:113], v[64:65], s[14:15]
	v_pk_add_f32 v[110:111], v[20:21], v[110:111]
	v_pk_add_f32 v[112:113], v[114:115], v[112:113] neg_lo:[0,1] neg_hi:[0,1]
	v_pk_mul_f32 v[114:115], v[82:83], s[52:53]
	v_mov_b32_e32 v117, v113
	v_pk_mul_f32 v[112:113], v[66:67], s[16:17]
	v_pk_add_f32 v[110:111], v[116:117], v[110:111]
	v_pk_add_f32 v[112:113], v[118:119], v[112:113] neg_lo:[0,1] neg_hi:[0,1]
	v_pk_mul_f32 v[82:83], v[82:83], s[34:35]
	v_mov_b32_e32 v121, v113
	v_pk_mul_f32 v[112:113], v[68:69], s[10:11]
	v_pk_add_f32 v[110:111], v[120:121], v[110:111]
	v_pk_add_f32 v[112:113], v[124:125], v[112:113] neg_lo:[0,1] neg_hi:[0,1]
	v_pk_fma_f32 v[120:121], v[64:65], s[40:41], v[114:115]
	v_mov_b32_e32 v123, v113
	v_pk_mul_f32 v[112:113], v[70:71], s[30:31]
	v_pk_add_f32 v[110:111], v[122:123], v[110:111]
	v_pk_add_f32 v[112:113], v[126:127], v[112:113] neg_lo:[0,1] neg_hi:[0,1]
	v_pk_fma_f32 v[122:123], v[64:65], s[40:41], v[114:115] neg_lo:[1,0,0] neg_hi:[1,0,0]
	v_mov_b32_e32 v129, v113
	v_pk_mul_f32 v[112:113], v[72:73], s[36:37]
	v_mov_b32_e32 v122, v120
	v_pk_add_f32 v[112:113], v[130:131], v[112:113] neg_lo:[0,1] neg_hi:[0,1]
	v_pk_add_f32 v[110:111], v[128:129], v[110:111]
	v_mov_b32_e32 v133, v113
	v_pk_mul_f32 v[112:113], v[84:85], s[46:47]
	v_pk_add_f32 v[110:111], v[132:133], v[110:111]
	v_pk_fma_f32 v[116:117], v[62:63], s[24:25], v[112:113]
	v_pk_fma_f32 v[118:119], v[62:63], s[24:25], v[112:113] neg_lo:[1,0,0] neg_hi:[1,0,0]
	v_pk_mul_f32 v[84:85], v[84:85], s[50:51]
	v_mov_b32_e32 v118, v116
	v_pk_add_f32 v[118:119], v[20:21], v[118:119]
	v_pk_fma_f32 v[170:171], v[64:65], s[16:17], v[82:83] neg_lo:[1,0,0] neg_hi:[1,0,0]
	v_pk_add_f32 v[118:119], v[122:123], v[118:119]
	v_pk_mul_f32 v[122:123], v[80:81], s[48:49]
	v_pk_mul_f32 v[80:81], v[80:81], s[46:47]
	v_pk_fma_f32 v[124:125], v[66:67], s[22:23], v[122:123]
	v_pk_fma_f32 v[126:127], v[66:67], s[22:23], v[122:123] neg_lo:[1,0,0] neg_hi:[1,0,0]
	v_pk_fma_f32 v[172:173], v[66:67], s[24:25], v[80:81] neg_lo:[1,0,0] neg_hi:[1,0,0]
	v_mov_b32_e32 v126, v124
	v_pk_add_f32 v[118:119], v[126:127], v[118:119]
	v_pk_mul_f32 v[126:127], v[78:79], s[42:43]
	v_pk_mul_f32 v[78:79], v[78:79], s[38:39]
	v_pk_fma_f32 v[128:129], v[68:69], s[30:31], v[126:127]
	v_pk_fma_f32 v[130:131], v[68:69], s[30:31], v[126:127] neg_lo:[1,0,0] neg_hi:[1,0,0]
	v_pk_fma_f32 v[174:175], v[68:69], s[36:37], v[78:79] neg_lo:[1,0,0] neg_hi:[1,0,0]
	v_mov_b32_e32 v130, v128
	;; [unrolled: 7-line block ×4, first 2 shown]
	v_pk_add_f32 v[118:119], v[168:169], v[118:119]
	ds_write2_b64 v137, v[110:111], v[118:119] offset0:4 offset1:5
	v_pk_fma_f32 v[110:111], v[62:63], s[26:27], v[84:85]
	v_pk_fma_f32 v[118:119], v[62:63], s[26:27], v[84:85] neg_lo:[1,0,0] neg_hi:[1,0,0]
	v_pk_fma_f32 v[168:169], v[64:65], s[16:17], v[82:83]
	v_mov_b32_e32 v118, v110
	v_pk_add_f32 v[118:119], v[20:21], v[118:119]
	v_mov_b32_e32 v170, v168
	v_pk_add_f32 v[118:119], v[170:171], v[118:119]
	v_pk_fma_f32 v[170:171], v[66:67], s[24:25], v[80:81]
	v_pk_fma_f32 v[84:85], v[62:63], s[26:27], v[84:85] neg_lo:[0,0,1] neg_hi:[0,0,1]
	v_mov_b32_e32 v172, v170
	v_pk_add_f32 v[118:119], v[172:173], v[118:119]
	v_pk_fma_f32 v[172:173], v[68:69], s[36:37], v[78:79]
	v_mov_b32_e32 v85, v111
	v_pk_fma_f32 v[82:83], v[64:65], s[16:17], v[82:83] neg_lo:[0,0,1] neg_hi:[0,0,1]
	v_mov_b32_e32 v174, v172
	v_mov_b32_e32 v83, v169
	v_pk_add_f32 v[84:85], v[20:21], v[84:85]
	v_pk_fma_f32 v[80:81], v[66:67], s[24:25], v[80:81] neg_lo:[0,0,1] neg_hi:[0,0,1]
	v_pk_add_f32 v[118:119], v[174:175], v[118:119]
	v_pk_fma_f32 v[174:175], v[70:71], s[2:3], v[76:77]
	v_pk_add_f32 v[82:83], v[82:83], v[84:85]
	v_mov_b32_e32 v81, v171
	v_pk_fma_f32 v[78:79], v[68:69], s[36:37], v[78:79] neg_lo:[0,0,1] neg_hi:[0,0,1]
	v_mov_b32_e32 v176, v174
	v_pk_add_f32 v[80:81], v[80:81], v[82:83]
	v_mov_b32_e32 v79, v173
	v_pk_fma_f32 v[76:77], v[70:71], s[2:3], v[76:77] neg_lo:[0,0,1] neg_hi:[0,0,1]
	v_pk_add_f32 v[118:119], v[176:177], v[118:119]
	v_pk_fma_f32 v[176:177], v[72:73], s[40:41], v[74:75]
	v_pk_add_f32 v[78:79], v[78:79], v[80:81]
	v_mov_b32_e32 v77, v175
	v_pk_fma_f32 v[74:75], v[72:73], s[40:41], v[74:75] neg_lo:[0,0,1] neg_hi:[0,0,1]
	v_mov_b32_e32 v178, v176
	v_pk_add_f32 v[76:77], v[76:77], v[78:79]
	v_mov_b32_e32 v75, v177
	v_pk_add_f32 v[118:119], v[178:179], v[118:119]
	v_pk_add_f32 v[74:75], v[74:75], v[76:77]
	ds_write2_b64 v137, v[118:119], v[74:75] offset0:6 offset1:7
	v_pk_fma_f32 v[74:75], v[62:63], s[24:25], v[112:113] neg_lo:[0,0,1] neg_hi:[0,0,1]
	v_pk_fma_f32 v[76:77], v[64:65], s[40:41], v[114:115] neg_lo:[0,0,1] neg_hi:[0,0,1]
	v_mov_b32_e32 v75, v117
	v_pk_add_f32 v[74:75], v[20:21], v[74:75]
	v_mov_b32_e32 v77, v121
	v_pk_add_f32 v[74:75], v[76:77], v[74:75]
	v_pk_fma_f32 v[76:77], v[66:67], s[22:23], v[122:123] neg_lo:[0,0,1] neg_hi:[0,0,1]
	v_pk_fma_f32 v[78:79], v[64:65], s[2:3], v[92:93] neg_lo:[0,0,1] neg_hi:[0,0,1]
	v_mov_b32_e32 v77, v125
	v_pk_add_f32 v[74:75], v[76:77], v[74:75]
	v_pk_fma_f32 v[76:77], v[68:69], s[30:31], v[126:127] neg_lo:[0,0,1] neg_hi:[0,0,1]
	v_mov_b32_e32 v79, v91
	v_mov_b32_e32 v77, v129
	v_pk_add_f32 v[74:75], v[76:77], v[74:75]
	v_pk_fma_f32 v[76:77], v[70:71], s[16:17], v[130:131] neg_lo:[0,0,1] neg_hi:[0,0,1]
	v_pk_fma_f32 v[18:19], v[72:73], s[26:27], v[46:47] neg_lo:[0,0,1] neg_hi:[0,0,1]
	v_mov_b32_e32 v77, v133
	v_pk_add_f32 v[74:75], v[76:77], v[74:75]
	v_pk_fma_f32 v[76:77], v[72:73], s[2:3], v[138:139] neg_lo:[0,0,1] neg_hi:[0,0,1]
	v_mov_b32_e32 v19, v41
	v_mov_b32_e32 v77, v145
	v_pk_add_f32 v[74:75], v[76:77], v[74:75]
	ds_write2_b64 v137, v[74:75], v[24:25] offset0:8 offset1:9
	v_pk_fma_f32 v[74:75], v[62:63], s[10:11], v[140:141] neg_lo:[0,0,1] neg_hi:[0,0,1]
	v_pk_fma_f32 v[76:77], v[64:65], s[26:27], v[146:147] neg_lo:[0,0,1] neg_hi:[0,0,1]
	v_mov_b32_e32 v75, v143
	v_pk_add_f32 v[74:75], v[20:21], v[74:75]
	v_mov_b32_e32 v77, v149
	v_pk_add_f32 v[74:75], v[76:77], v[74:75]
	v_pk_fma_f32 v[76:77], v[66:67], s[44:45], v[150:151] neg_lo:[0,0,1] neg_hi:[0,0,1]
	v_pk_add_f32 v[16:17], v[18:19], v[16:17]
	v_mov_b32_e32 v77, v153
	v_pk_add_f32 v[74:75], v[76:77], v[74:75]
	v_pk_fma_f32 v[76:77], v[68:69], s[16:17], v[154:155] neg_lo:[0,0,1] neg_hi:[0,0,1]
	ds_write_b64 v137, v[16:17] offset:96
	v_mov_b32_e32 v77, v157
	v_pk_add_f32 v[74:75], v[76:77], v[74:75]
	v_pk_fma_f32 v[76:77], v[70:71], s[22:23], v[160:161] neg_lo:[0,0,1] neg_hi:[0,0,1]
	s_nop 0
	v_mov_b32_e32 v77, v163
	v_pk_add_f32 v[74:75], v[76:77], v[74:75]
	v_pk_fma_f32 v[76:77], v[72:73], s[24:25], v[164:165] neg_lo:[0,0,1] neg_hi:[0,0,1]
	s_nop 0
	;; [unrolled: 4-line block ×3, first 2 shown]
	v_mov_b32_e32 v77, v87
	v_pk_add_f32 v[76:77], v[20:21], v[76:77]
	s_nop 0
	v_pk_add_f32 v[76:77], v[78:79], v[76:77]
	v_pk_fma_f32 v[78:79], v[66:67], s[26:27], v[96:97] neg_lo:[0,0,1] neg_hi:[0,0,1]
	s_nop 0
	v_mov_b32_e32 v79, v95
	v_pk_add_f32 v[76:77], v[78:79], v[76:77]
	v_pk_fma_f32 v[78:79], v[68:69], s[14:15], v[100:101] neg_lo:[0,0,1] neg_hi:[0,0,1]
	s_nop 0
	v_mov_b32_e32 v79, v99
	;; [unrolled: 4-line block ×4, first 2 shown]
	v_pk_add_f32 v[76:77], v[78:79], v[76:77]
	ds_write2_b64 v137, v[74:75], v[76:77] offset0:10 offset1:11
.LBB0_17:
	s_or_b64 exec, exec, s[18:19]
	s_waitcnt lgkmcnt(0)
	; wave barrier
	s_waitcnt lgkmcnt(0)
	ds_read2_b64 v[28:31], v134 offset1:26
	ds_read2_b64 v[32:35], v134 offset0:52 offset1:78
	ds_read2_b64 v[36:39], v134 offset0:156 offset1:182
	v_mov_b32_e32 v22, v13
	v_mov_b32_e32 v16, v56
	s_mov_b32 s10, 0x3f248dbb
	s_waitcnt lgkmcnt(2)
	v_pk_mul_f32 v[26:27], v[12:13], v[30:31] op_sel:[0,1] op_sel_hi:[1,0]
	v_pk_mul_f32 v[22:23], v[22:23], v[30:31] op_sel:[0,1] op_sel_hi:[1,0]
	v_mov_b32_e32 v17, v26
	v_pk_fma_f32 v[22:23], v[12:13], v[30:31], v[22:23]
	v_pk_fma_f32 v[12:13], v[12:13], v[30:31], v[16:17] op_sel:[0,1,0] op_sel_hi:[1,0,1] neg_lo:[1,0,0] neg_hi:[1,0,0]
	s_waitcnt lgkmcnt(1)
	v_pk_mul_f32 v[30:31], v[14:15], v[32:33] op_sel:[0,1] op_sel_hi:[1,0]
	v_mov_b32_e32 v12, v15
	v_pk_mul_f32 v[26:27], v[12:13], v[32:33] op_sel:[0,1] op_sel_hi:[1,0]
	v_mov_b32_e32 v17, v30
	v_pk_fma_f32 v[26:27], v[14:15], v[32:33], v[26:27]
	v_pk_fma_f32 v[14:15], v[14:15], v[32:33], v[16:17] op_sel:[0,1,0] op_sel_hi:[1,0,1] neg_lo:[1,0,0] neg_hi:[1,0,0]
	ds_read_b64 v[32:33], v134 offset:1664
	v_mov_b32_e32 v12, v9
	s_waitcnt lgkmcnt(1)
	v_pk_mul_f32 v[40:41], v[8:9], v[38:39] op_sel:[0,1] op_sel_hi:[1,0]
	v_pk_mul_f32 v[30:31], v[12:13], v[38:39] op_sel:[0,1] op_sel_hi:[1,0]
	v_mov_b32_e32 v17, v40
	v_pk_fma_f32 v[30:31], v[8:9], v[38:39], v[30:31]
	v_pk_fma_f32 v[38:39], v[8:9], v[38:39], v[16:17] op_sel:[0,1,0] op_sel_hi:[1,0,1] neg_lo:[1,0,0] neg_hi:[1,0,0]
	v_mov_b32_e32 v8, v11
	s_waitcnt lgkmcnt(0)
	v_pk_mul_f32 v[8:9], v[8:9], v[32:33] op_sel:[0,1] op_sel_hi:[1,0]
	v_pk_mul_f32 v[46:47], v[4:5], v[34:35] op_sel:[1,0]
	v_pk_fma_f32 v[40:41], v[10:11], v[32:33], v[8:9]
	v_pk_mul_f32 v[8:9], v[10:11], v[32:33] op_sel:[0,1] op_sel_hi:[1,0]
	v_pk_fma_f32 v[62:63], v[4:5], v[34:35], v[46:47] op_sel:[0,0,1] op_sel_hi:[1,1,0]
	v_mov_b32_e32 v9, v8
	v_pk_fma_f32 v[32:33], v[10:11], v[32:33], v[8:9] op_sel:[0,1,0] op_sel_hi:[1,0,1] neg_lo:[1,0,0] neg_hi:[1,0,0]
	ds_read2_b64 v[8:11], v134 offset0:104 offset1:130
	v_pk_fma_f32 v[4:5], v[4:5], v[34:35], v[46:47] op_sel:[0,0,1] op_sel_hi:[0,1,0] neg_lo:[0,0,1] neg_hi:[0,0,1]
	v_mov_b32_e32 v63, v5
	v_mov_b32_e32 v23, v13
	;; [unrolled: 1-line block ×3, first 2 shown]
	s_waitcnt lgkmcnt(0)
	v_pk_mul_f32 v[4:5], v[6:7], v[8:9]
	v_pk_mul_f32 v[0:1], v[0:1], v[10:11]
	v_pk_fma_f32 v[6:7], v[60:61], v[8:9], v[4:5] op_sel:[0,0,1] op_sel_hi:[1,1,0]
	v_pk_fma_f32 v[4:5], v[60:61], v[8:9], v[4:5] op_sel:[0,0,1] op_sel_hi:[1,1,0] neg_lo:[0,0,1] neg_hi:[0,0,1]
	v_mov_b32_e32 v27, v15
	v_mov_b32_e32 v7, v5
	v_pk_fma_f32 v[4:5], v[58:59], v[10:11], v[0:1] op_sel:[0,0,1] op_sel_hi:[1,1,0]
	v_pk_fma_f32 v[0:1], v[58:59], v[10:11], v[0:1] op_sel:[0,0,1] op_sel_hi:[1,1,0] neg_lo:[0,0,1] neg_hi:[0,0,1]
	v_mov_b32_e32 v31, v39
	v_mov_b32_e32 v5, v1
	v_pk_mul_f32 v[0:1], v[2:3], v[36:37] op_sel:[1,0]
	v_mov_b32_e32 v14, v15
	v_pk_fma_f32 v[8:9], v[2:3], v[36:37], v[0:1] op_sel:[0,0,1] op_sel_hi:[1,1,0]
	v_pk_fma_f32 v[0:1], v[2:3], v[36:37], v[0:1] op_sel:[0,0,1] op_sel_hi:[0,1,0] neg_lo:[0,0,1] neg_hi:[0,0,1]
	v_mov_b32_e32 v9, v1
	v_pk_add_f32 v[0:1], v[22:23], v[40:41]
	v_mov_b32_e32 v15, v22
	v_mov_b32_e32 v22, v39
	;; [unrolled: 1-line block ×3, first 2 shown]
	s_mov_b32 s11, 0x3f7c1c5c
	v_pk_add_f32 v[2:3], v[26:27], v[30:31]
	v_mov_b32_e32 v12, v13
	v_mov_b32_e32 v13, v26
	;; [unrolled: 1-line block ×4, first 2 shown]
	v_pk_add_f32 v[14:15], v[14:15], v[22:23] neg_lo:[0,1] neg_hi:[0,1]
	s_mov_b32 s14, s11
	s_mov_b32 s15, s10
	v_pk_add_f32 v[10:11], v[62:63], v[8:9]
	v_pk_add_f32 v[12:13], v[12:13], v[26:27] neg_lo:[0,1] neg_hi:[0,1]
	v_pk_add_f32 v[8:9], v[62:63], v[8:9] neg_lo:[0,1] neg_hi:[0,1]
	s_mov_b32 s2, 0x3f5db3d7
	v_pk_mul_f32 v[22:23], v[14:15], s[14:15]
	v_pk_mul_f32 v[8:9], v[8:9], s[2:3] op_sel_hi:[1,0]
	v_pk_fma_f32 v[22:23], v[12:13], s[10:11], v[22:23]
	v_pk_add_f32 v[30:31], v[6:7], v[4:5] neg_lo:[0,1] neg_hi:[0,1]
	v_pk_add_f32 v[22:23], v[8:9], v[22:23] op_sel:[1,0] op_sel_hi:[0,1]
	s_mov_b32 s10, 0x3eaf1d44
	s_mov_b32 s14, 0x3f441b7d
	v_pk_fma_f32 v[26:27], v[30:31], s[10:11], v[22:23] op_sel:[1,0,0] op_sel_hi:[0,0,1]
	v_pk_fma_f32 v[22:23], v[0:1], s[14:15], v[28:29] op_sel_hi:[1,0,1]
	s_mov_b32 s16, 0x3e31d0d4
	v_pk_fma_f32 v[22:23], v[2:3], s[16:17], v[22:23] op_sel_hi:[1,0,1]
	v_pk_add_f32 v[36:37], v[2:3], v[0:1]
	v_pk_fma_f32 v[22:23], v[10:11], 0.5, v[22:23] op_sel_hi:[1,0,1] neg_lo:[1,0,0] neg_hi:[1,0,0]
	v_pk_add_f32 v[32:33], v[6:7], v[4:5]
	s_mov_b32 s18, 0x3f708fb2
	v_pk_add_f32 v[38:39], v[10:11], v[36:37]
	v_pk_fma_f32 v[22:23], v[32:33], s[18:19], v[22:23] op_sel_hi:[1,0,1] neg_lo:[1,0,0] neg_hi:[1,0,0]
	v_pk_add_f32 v[6:7], v[6:7], v[38:39]
	v_pk_add_f32 v[34:35], v[22:23], v[26:27] neg_lo:[0,1] neg_hi:[0,1]
	v_pk_add_f32 v[22:23], v[22:23], v[26:27]
	v_pk_add_f32 v[4:5], v[4:5], v[6:7]
	v_mov_b32_e32 v35, v23
	v_pk_add_f32 v[4:5], v[4:5], v[28:29]
	s_mov_b32 s20, 0xbf248dbb
	s_waitcnt lgkmcnt(0)
	; wave barrier
	ds_write2_b64 v135, v[4:5], v[34:35] offset1:13
	v_pk_mul_f32 v[4:5], v[30:31], s[20:21] op_sel:[1,0] op_sel_hi:[0,0]
	v_mov_b32_e32 v6, v12
	v_mov_b32_e32 v7, v15
	s_mov_b32 s22, s11
	v_mov_b32_e32 v15, v13
	v_pk_fma_f32 v[12:13], v[32:33], s[14:15], v[28:29] op_sel_hi:[1,0,1]
	v_pk_fma_f32 v[4:5], v[6:7], s[22:23], v[4:5] op_sel_hi:[1,0,1]
	;; [unrolled: 1-line block ×3, first 2 shown]
	v_pk_add_f32 v[4:5], v[4:5], v[8:9] op_sel:[0,1] op_sel_hi:[1,0] neg_lo:[0,1] neg_hi:[0,1]
	v_pk_fma_f32 v[12:13], v[10:11], 0.5, v[12:13] op_sel_hi:[1,0,1] neg_lo:[1,0,0] neg_hi:[1,0,0]
	v_pk_fma_f32 v[4:5], v[14:15], s[10:11], v[4:5] op_sel_hi:[1,0,1]
	v_pk_fma_f32 v[12:13], v[2:3], s[18:19], v[12:13] op_sel_hi:[1,0,1] neg_lo:[1,0,0] neg_hi:[1,0,0]
	v_pk_fma_f32 v[22:23], v[26:27], 2.0, v[34:35] op_sel_hi:[1,0,1]
	v_pk_fma_f32 v[26:27], v[26:27], 2.0, v[34:35] op_sel_hi:[1,0,1] neg_lo:[1,0,0] neg_hi:[1,0,0]
	v_pk_add_f32 v[34:35], v[12:13], v[4:5] neg_lo:[0,1] neg_hi:[0,1]
	v_pk_add_f32 v[12:13], v[12:13], v[4:5]
	v_pk_fma_f32 v[2:3], v[2:3], s[14:15], v[28:29] op_sel_hi:[1,0,1]
	v_fma_f32 v12, 2.0, v4, v34
	v_mov_b32_e32 v35, v13
	v_fmac_f32_e32 v13, -2.0, v5
	v_pk_add_f32 v[4:5], v[30:31], v[6:7] op_sel:[1,0] op_sel_hi:[0,1]
	v_pk_mul_f32 v[30:31], v[30:31], s[22:23] op_sel:[1,0] op_sel_hi:[0,0]
	v_pk_add_f32 v[4:5], v[4:5], v[14:15] neg_lo:[0,1] neg_hi:[0,1]
	v_pk_fma_f32 v[14:15], v[14:15], s[20:21], v[30:31] op_sel_hi:[1,0,1] neg_lo:[0,0,1] neg_hi:[0,0,1]
	v_pk_fma_f32 v[2:3], v[32:33], s[16:17], v[2:3] op_sel_hi:[1,0,1]
	v_pk_add_f32 v[40:41], v[10:11], v[28:29]
	v_pk_add_f32 v[36:37], v[32:33], v[36:37]
	v_pk_add_f32 v[8:9], v[8:9], v[14:15] op_sel:[1,0] op_sel_hi:[0,1]
	v_pk_fma_f32 v[2:3], v[10:11], 0.5, v[2:3] op_sel_hi:[1,0,1] neg_lo:[1,0,0] neg_hi:[1,0,0]
	v_pk_fma_f32 v[36:37], v[36:37], 0.5, v[40:41] op_sel_hi:[1,0,1] neg_lo:[1,0,0] neg_hi:[1,0,0]
	v_pk_fma_f32 v[6:7], v[6:7], s[10:11], v[8:9] op_sel_hi:[1,0,1]
	v_pk_fma_f32 v[0:1], v[0:1], s[18:19], v[2:3] op_sel_hi:[1,0,1] neg_lo:[1,0,0] neg_hi:[1,0,0]
	v_pk_mul_f32 v[38:39], v[4:5], s[2:3] op_sel_hi:[1,0]
	v_pk_fma_f32 v[40:41], v[4:5], s[2:3], v[36:37] op_sel_hi:[1,0,1] neg_lo:[1,0,0] neg_hi:[1,0,0]
	v_pk_fma_f32 v[4:5], v[4:5], s[2:3], v[36:37] op_sel_hi:[1,0,1]
	v_pk_add_f32 v[2:3], v[0:1], v[6:7] neg_lo:[0,1] neg_hi:[0,1]
	v_pk_add_f32 v[0:1], v[0:1], v[6:7]
	v_fma_f32 v4, 2.0, v38, v40
	v_mov_b32_e32 v41, v5
	v_fmac_f32_e32 v5, -2.0, v39
	v_fma_f32 v0, 2.0, v6, v2
	v_mov_b32_e32 v3, v1
	v_fmac_f32_e32 v1, -2.0, v7
	v_mov_b32_e32 v23, v27
	ds_write2_b64 v135, v[34:35], v[40:41] offset0:26 offset1:39
	ds_write2_b64 v135, v[2:3], v[0:1] offset0:52 offset1:65
	;; [unrolled: 1-line block ×3, first 2 shown]
	ds_write_b64 v135, v[22:23] offset:832
	s_waitcnt lgkmcnt(0)
	; wave barrier
	s_waitcnt lgkmcnt(0)
	ds_read2_b64 v[8:11], v134 offset1:26
	ds_read2_b64 v[12:15], v134 offset0:117 offset1:143
	ds_read2_b64 v[0:3], v134 offset0:52 offset1:78
	;; [unrolled: 1-line block ×3, first 2 shown]
	v_mov_b32_e32 v20, v54
	v_mov_b32_e32 v21, v54
	;; [unrolled: 1-line block ×8, first 2 shown]
	v_add_u32_e32 v28, 0x1a0, v136
	v_add_u32_e32 v26, 0x270, v136
	s_and_saveexec_b64 s[2:3], s[0:1]
	s_cbranch_execz .LBB0_19
; %bb.18:
	ds_read2_b64 v[22:25], v134 offset0:104 offset1:221
	s_waitcnt lgkmcnt(0)
	v_mov_b32_e32 v27, v23
.LBB0_19:
	s_or_b64 exec, exec, s[2:3]
	s_waitcnt lgkmcnt(2)
	v_pk_mul_f32 v[30:31], v[54:55], v[12:13]
	v_pk_mul_f32 v[32:33], v[52:53], v[14:15]
	v_pk_fma_f32 v[38:39], v[20:21], v[12:13], v[30:31] op_sel:[0,0,1] op_sel_hi:[1,1,0]
	v_pk_fma_f32 v[12:13], v[20:21], v[12:13], v[30:31] op_sel:[0,0,1] op_sel_hi:[1,1,0] neg_lo:[0,0,1] neg_hi:[0,0,1]
	v_pk_fma_f32 v[20:21], v[18:19], v[14:15], v[32:33] op_sel:[0,0,1] op_sel_hi:[1,1,0]
	v_pk_fma_f32 v[14:15], v[18:19], v[14:15], v[32:33] op_sel:[0,0,1] op_sel_hi:[1,1,0] neg_lo:[0,0,1] neg_hi:[0,0,1]
	v_mov_b32_e32 v39, v13
	v_mov_b32_e32 v21, v15
	v_pk_add_f32 v[12:13], v[8:9], v[38:39] neg_lo:[0,1] neg_hi:[0,1]
	v_pk_add_f32 v[14:15], v[10:11], v[20:21] neg_lo:[0,1] neg_hi:[0,1]
	s_waitcnt lgkmcnt(0)
	v_pk_mul_f32 v[34:35], v[50:51], v[4:5] op_sel:[1,0]
	v_pk_fma_f32 v[8:9], v[8:9], 2.0, v[12:13] op_sel_hi:[1,0,1] neg_lo:[0,0,1] neg_hi:[0,0,1]
	v_pk_fma_f32 v[10:11], v[10:11], 2.0, v[14:15] op_sel_hi:[1,0,1] neg_lo:[0,0,1] neg_hi:[0,0,1]
	ds_write2_b64 v43, v[8:9], v[10:11] offset1:26
	ds_write2_b64 v43, v[12:13], v[14:15] offset0:117 offset1:143
	v_pk_fma_f32 v[8:9], v[50:51], v[4:5], v[34:35] op_sel:[0,0,1] op_sel_hi:[1,1,0]
	v_pk_fma_f32 v[4:5], v[50:51], v[4:5], v[34:35] op_sel:[0,0,1] op_sel_hi:[0,1,0] neg_lo:[0,0,1] neg_hi:[0,0,1]
	v_mov_b32_e32 v9, v5
	v_pk_add_f32 v[4:5], v[0:1], v[8:9] neg_lo:[0,1] neg_hi:[0,1]
	v_pk_mul_f32 v[36:37], v[56:57], v[6:7]
	v_pk_fma_f32 v[0:1], v[0:1], 2.0, v[4:5] op_sel_hi:[1,0,1] neg_lo:[0,0,1] neg_hi:[0,0,1]
	ds_write_b64 v43, v[0:1] offset:416
	ds_write_b64 v28, v[4:5] offset:936
	v_pk_fma_f32 v[0:1], v[16:17], v[6:7], v[36:37] op_sel:[0,0,1] op_sel_hi:[1,1,0]
	v_pk_fma_f32 v[4:5], v[16:17], v[6:7], v[36:37] op_sel:[0,0,1] op_sel_hi:[1,1,0] neg_lo:[0,0,1] neg_hi:[0,0,1]
	s_nop 0
	v_mov_b32_e32 v1, v5
	v_pk_add_f32 v[0:1], v[2:3], v[0:1] neg_lo:[0,1] neg_hi:[0,1]
	s_nop 0
	v_pk_fma_f32 v[2:3], v[2:3], 2.0, v[0:1] op_sel_hi:[1,0,1] neg_lo:[0,0,1] neg_hi:[0,0,1]
	ds_write_b64 v43, v[2:3] offset:624
	ds_write_b64 v26, v[0:1] offset:936
	s_and_saveexec_b64 s[2:3], s[0:1]
	s_cbranch_execz .LBB0_21
; %bb.20:
	v_pk_mul_f32 v[0:1], v[48:49], v[24:25] op_sel:[0,1]
	v_mov_b32_e32 v23, v27
	v_pk_fma_f32 v[2:3], v[48:49], v[24:25], v[0:1] op_sel:[0,0,1] op_sel_hi:[1,1,0]
	v_pk_fma_f32 v[0:1], v[48:49], v[24:25], v[0:1] op_sel:[0,0,1] op_sel_hi:[1,0,0] neg_lo:[1,0,0] neg_hi:[1,0,0]
	s_nop 0
	v_mov_b32_e32 v3, v1
	v_pk_add_f32 v[0:1], v[22:23], v[2:3] neg_lo:[0,1] neg_hi:[0,1]
	s_nop 0
	v_pk_fma_f32 v[2:3], v[22:23], 2.0, v[0:1] op_sel_hi:[1,0,1] neg_lo:[0,0,1] neg_hi:[0,0,1]
	ds_write2_b64 v43, v[2:3], v[0:1] offset0:104 offset1:221
.LBB0_21:
	s_or_b64 exec, exec, s[2:3]
	s_waitcnt lgkmcnt(0)
	; wave barrier
	s_waitcnt lgkmcnt(0)
	s_and_b64 exec, exec, vcc
	s_cbranch_execz .LBB0_23
; %bb.22:
	global_load_dwordx2 v[8:9], v45, s[8:9]
	global_load_dwordx2 v[10:11], v45, s[8:9] offset:144
	global_load_dwordx2 v[12:13], v45, s[8:9] offset:288
	;; [unrolled: 1-line block ×4, first 2 shown]
	ds_read_b64 v[22:23], v43
	global_load_dwordx2 v[26:27], v45, s[8:9] offset:720
	global_load_dwordx2 v[28:29], v45, s[8:9] offset:864
	;; [unrolled: 1-line block ×3, first 2 shown]
	v_lshl_add_u32 v36, v158, 3, v45
	ds_read2_b64 v[0:3], v36 offset0:18 offset1:36
	ds_read2_b64 v[4:7], v36 offset0:54 offset1:72
	v_mad_u64_u32 v[20:21], s[0:1], s6, v44, 0
	v_mad_u64_u32 v[24:25], s[2:3], s4, v42, 0
	v_mov_b32_e32 v32, v21
	v_mov_b32_e32 v34, v25
	v_mad_u64_u32 v[32:33], s[6:7], s7, v44, v[32:33]
	v_mad_u64_u32 v[34:35], s[6:7], s5, v42, v[34:35]
	v_mov_b32_e32 v25, v34
	v_mov_b32_e32 v16, s12
	;; [unrolled: 1-line block ×4, first 2 shown]
	v_lshl_add_u64 v[16:17], v[20:21], 3, v[16:17]
	v_mov_b32_e32 v37, 0x90
	v_lshl_add_u64 v[16:17], v[24:25], 3, v[16:17]
	s_mul_i32 s2, s5, 0x90
	v_mad_u64_u32 v[20:21], s[6:7], s4, v37, v[16:17]
	s_mov_b32 s0, 0x11811812
	v_add_u32_e32 v21, s2, v21
	s_mov_b32 s1, 0x3f718118
	v_mad_u64_u32 v[24:25], s[6:7], s4, v37, v[20:21]
	v_add_u32_e32 v25, s2, v25
	v_mad_u64_u32 v[32:33], s[6:7], s4, v37, v[24:25]
	v_add_u32_e32 v33, s2, v33
	s_waitcnt vmcnt(7) lgkmcnt(2)
	v_mul_f32_e32 v34, v23, v9
	s_waitcnt vmcnt(6) lgkmcnt(1)
	v_mul_f32_e32 v35, v1, v11
	v_mul_f32_e32 v9, v22, v9
	v_mul_f32_e32 v11, v0, v11
	s_waitcnt vmcnt(4) lgkmcnt(0)
	v_mul_f32_e32 v39, v5, v15
	v_mul_f32_e32 v15, v4, v15
	v_fmac_f32_e32 v34, v22, v8
	v_fmac_f32_e32 v35, v0, v10
	v_fma_f32 v8, v8, v23, -v9
	v_fma_f32 v9, v10, v1, -v11
	v_fmac_f32_e32 v39, v4, v14
	v_fma_f32 v22, v14, v5, -v15
	v_cvt_f64_f32_e32 v[0:1], v34
	v_cvt_f64_f32_e32 v[4:5], v35
	global_load_dwordx2 v[34:35], v45, s[8:9] offset:1152
	v_mul_f32_e32 v38, v3, v13
	v_mul_f32_e32 v13, v2, v13
	v_fmac_f32_e32 v38, v2, v12
	v_fma_f32 v12, v12, v3, -v13
	v_cvt_f64_f32_e32 v[2:3], v8
	v_cvt_f64_f32_e32 v[8:9], v9
	;; [unrolled: 1-line block ×6, first 2 shown]
	v_mul_f64 v[0:1], v[0:1], s[0:1]
	v_mul_f64 v[2:3], v[2:3], s[0:1]
	;; [unrolled: 1-line block ×8, first 2 shown]
	v_cvt_f32_f64_e32 v0, v[0:1]
	v_cvt_f32_f64_e32 v1, v[2:3]
	;; [unrolled: 1-line block ×5, first 2 shown]
	global_load_dwordx2 v[10:11], v45, s[8:9] offset:1296
	v_cvt_f32_f64_e32 v5, v[12:13]
	v_cvt_f32_f64_e32 v8, v[14:15]
	;; [unrolled: 1-line block ×3, first 2 shown]
	global_store_dwordx2 v[16:17], v[0:1], off
	global_store_dwordx2 v[20:21], v[2:3], off
	;; [unrolled: 1-line block ×4, first 2 shown]
	s_waitcnt vmcnt(9)
	v_mul_f32_e32 v0, v7, v19
	v_fmac_f32_e32 v0, v6, v18
	v_cvt_f64_f32_e32 v[0:1], v0
	v_mul_f64 v[0:1], v[0:1], s[0:1]
	v_cvt_f32_f64_e32 v4, v[0:1]
	v_mul_f32_e32 v0, v6, v19
	v_fma_f32 v0, v18, v7, -v0
	global_load_dwordx2 v[6:7], v45, s[8:9] offset:1440
	global_load_dwordx2 v[12:13], v45, s[8:9] offset:1584
	v_cvt_f64_f32_e32 v[0:1], v0
	v_mul_f64 v[0:1], v[0:1], s[0:1]
	v_cvt_f32_f64_e32 v5, v[0:1]
	ds_read2_b64 v[0:3], v36 offset0:90 offset1:108
	v_mad_u64_u32 v[8:9], s[6:7], s4, v37, v[32:33]
	v_add_u32_e32 v9, s2, v9
	global_store_dwordx2 v[8:9], v[4:5], off
	s_waitcnt vmcnt(11) lgkmcnt(0)
	v_mul_f32_e32 v4, v1, v27
	v_fmac_f32_e32 v4, v0, v26
	v_mul_f32_e32 v0, v0, v27
	v_fma_f32 v0, v26, v1, -v0
	v_cvt_f64_f32_e32 v[4:5], v4
	v_cvt_f64_f32_e32 v[0:1], v0
	v_mul_f64 v[4:5], v[4:5], s[0:1]
	v_mul_f64 v[0:1], v[0:1], s[0:1]
	v_cvt_f32_f64_e32 v4, v[4:5]
	v_cvt_f32_f64_e32 v5, v[0:1]
	s_waitcnt vmcnt(10)
	v_mul_f32_e32 v0, v3, v29
	v_fmac_f32_e32 v0, v2, v28
	v_mad_u64_u32 v[8:9], s[6:7], s4, v37, v[8:9]
	v_cvt_f64_f32_e32 v[0:1], v0
	v_add_u32_e32 v9, s2, v9
	v_mul_f64 v[0:1], v[0:1], s[0:1]
	global_store_dwordx2 v[8:9], v[4:5], off
	v_cvt_f32_f64_e32 v4, v[0:1]
	v_mul_f32_e32 v0, v2, v29
	v_fma_f32 v0, v28, v3, -v0
	v_cvt_f64_f32_e32 v[0:1], v0
	v_mul_f64 v[0:1], v[0:1], s[0:1]
	v_cvt_f32_f64_e32 v5, v[0:1]
	ds_read2_b64 v[0:3], v36 offset0:126 offset1:144
	v_mad_u64_u32 v[8:9], s[6:7], s4, v37, v[8:9]
	v_add_u32_e32 v9, s2, v9
	global_store_dwordx2 v[8:9], v[4:5], off
	s_waitcnt vmcnt(11) lgkmcnt(0)
	v_mul_f32_e32 v4, v1, v31
	v_fmac_f32_e32 v4, v0, v30
	v_mul_f32_e32 v0, v0, v31
	v_fma_f32 v0, v30, v1, -v0
	v_cvt_f64_f32_e32 v[4:5], v4
	v_cvt_f64_f32_e32 v[0:1], v0
	v_mul_f64 v[4:5], v[4:5], s[0:1]
	v_mul_f64 v[0:1], v[0:1], s[0:1]
	v_cvt_f32_f64_e32 v4, v[4:5]
	v_cvt_f32_f64_e32 v5, v[0:1]
	s_waitcnt vmcnt(10)
	v_mul_f32_e32 v0, v3, v35
	v_fmac_f32_e32 v0, v2, v34
	v_mad_u64_u32 v[8:9], s[6:7], s4, v37, v[8:9]
	v_cvt_f64_f32_e32 v[0:1], v0
	v_add_u32_e32 v9, s2, v9
	v_mul_f64 v[0:1], v[0:1], s[0:1]
	global_store_dwordx2 v[8:9], v[4:5], off
	v_cvt_f32_f64_e32 v4, v[0:1]
	v_mul_f32_e32 v0, v2, v35
	v_fma_f32 v0, v34, v3, -v0
	v_cvt_f64_f32_e32 v[0:1], v0
	v_mul_f64 v[0:1], v[0:1], s[0:1]
	v_cvt_f32_f64_e32 v5, v[0:1]
	ds_read2_b64 v[0:3], v36 offset0:162 offset1:180
	v_mad_u64_u32 v[8:9], s[6:7], s4, v37, v[8:9]
	v_add_u32_e32 v9, s2, v9
	global_store_dwordx2 v[8:9], v[4:5], off
	s_waitcnt vmcnt(11) lgkmcnt(0)
	v_mul_f32_e32 v4, v1, v11
	v_fmac_f32_e32 v4, v0, v10
	v_mul_f32_e32 v0, v0, v11
	v_fma_f32 v0, v10, v1, -v0
	v_cvt_f64_f32_e32 v[4:5], v4
	v_cvt_f64_f32_e32 v[0:1], v0
	v_mul_f64 v[4:5], v[4:5], s[0:1]
	v_mul_f64 v[0:1], v[0:1], s[0:1]
	v_cvt_f32_f64_e32 v4, v[4:5]
	v_cvt_f32_f64_e32 v5, v[0:1]
	v_mad_u64_u32 v[8:9], s[6:7], s4, v37, v[8:9]
	s_waitcnt vmcnt(6)
	v_mul_f32_e32 v0, v3, v7
	v_fmac_f32_e32 v0, v2, v6
	v_cvt_f64_f32_e32 v[0:1], v0
	v_add_u32_e32 v9, s2, v9
	v_mul_f64 v[0:1], v[0:1], s[0:1]
	global_store_dwordx2 v[8:9], v[4:5], off
	v_cvt_f32_f64_e32 v4, v[0:1]
	v_mul_f32_e32 v0, v2, v7
	v_fma_f32 v0, v6, v3, -v0
	v_cvt_f64_f32_e32 v[0:1], v0
	v_mul_f64 v[0:1], v[0:1], s[0:1]
	v_cvt_f32_f64_e32 v5, v[0:1]
	ds_read2_b64 v[0:3], v36 offset0:198 offset1:216
	v_mad_u64_u32 v[6:7], s[6:7], s4, v37, v[8:9]
	v_add_u32_e32 v7, s2, v7
	global_store_dwordx2 v[6:7], v[4:5], off
	s_waitcnt vmcnt(7) lgkmcnt(0)
	v_mul_f32_e32 v4, v1, v13
	v_fmac_f32_e32 v4, v0, v12
	v_mul_f32_e32 v0, v0, v13
	v_fma_f32 v0, v12, v1, -v0
	v_cvt_f64_f32_e32 v[4:5], v4
	v_cvt_f64_f32_e32 v[0:1], v0
	v_mul_f64 v[4:5], v[4:5], s[0:1]
	v_mul_f64 v[0:1], v[0:1], s[0:1]
	v_cvt_f32_f64_e32 v4, v[4:5]
	v_cvt_f32_f64_e32 v5, v[0:1]
	v_mad_u64_u32 v[0:1], s[6:7], s4, v37, v[6:7]
	v_add_u32_e32 v1, s2, v1
	global_store_dwordx2 v[0:1], v[4:5], off
	global_load_dwordx2 v[4:5], v45, s[8:9] offset:1728
	s_waitcnt vmcnt(0)
	v_mul_f32_e32 v6, v3, v5
	v_fmac_f32_e32 v6, v2, v4
	v_mul_f32_e32 v2, v2, v5
	v_fma_f32 v2, v4, v3, -v2
	v_cvt_f64_f32_e32 v[6:7], v6
	v_cvt_f64_f32_e32 v[2:3], v2
	v_mul_f64 v[6:7], v[6:7], s[0:1]
	v_mul_f64 v[2:3], v[2:3], s[0:1]
	v_mad_u64_u32 v[0:1], s[0:1], s4, v37, v[0:1]
	v_cvt_f32_f64_e32 v6, v[6:7]
	v_cvt_f32_f64_e32 v7, v[2:3]
	v_add_u32_e32 v1, s2, v1
	global_store_dwordx2 v[0:1], v[6:7], off
.LBB0_23:
	s_endpgm
	.section	.rodata,"a",@progbits
	.p2align	6, 0x0
	.amdhsa_kernel bluestein_single_fwd_len234_dim1_sp_op_CI_CI
		.amdhsa_group_segment_fixed_size 3744
		.amdhsa_private_segment_fixed_size 0
		.amdhsa_kernarg_size 104
		.amdhsa_user_sgpr_count 2
		.amdhsa_user_sgpr_dispatch_ptr 0
		.amdhsa_user_sgpr_queue_ptr 0
		.amdhsa_user_sgpr_kernarg_segment_ptr 1
		.amdhsa_user_sgpr_dispatch_id 0
		.amdhsa_user_sgpr_kernarg_preload_length 0
		.amdhsa_user_sgpr_kernarg_preload_offset 0
		.amdhsa_user_sgpr_private_segment_size 0
		.amdhsa_uses_dynamic_stack 0
		.amdhsa_enable_private_segment 0
		.amdhsa_system_sgpr_workgroup_id_x 1
		.amdhsa_system_sgpr_workgroup_id_y 0
		.amdhsa_system_sgpr_workgroup_id_z 0
		.amdhsa_system_sgpr_workgroup_info 0
		.amdhsa_system_vgpr_workitem_id 0
		.amdhsa_next_free_vgpr 180
		.amdhsa_next_free_sgpr 56
		.amdhsa_accum_offset 180
		.amdhsa_reserve_vcc 1
		.amdhsa_float_round_mode_32 0
		.amdhsa_float_round_mode_16_64 0
		.amdhsa_float_denorm_mode_32 3
		.amdhsa_float_denorm_mode_16_64 3
		.amdhsa_dx10_clamp 1
		.amdhsa_ieee_mode 1
		.amdhsa_fp16_overflow 0
		.amdhsa_tg_split 0
		.amdhsa_exception_fp_ieee_invalid_op 0
		.amdhsa_exception_fp_denorm_src 0
		.amdhsa_exception_fp_ieee_div_zero 0
		.amdhsa_exception_fp_ieee_overflow 0
		.amdhsa_exception_fp_ieee_underflow 0
		.amdhsa_exception_fp_ieee_inexact 0
		.amdhsa_exception_int_div_zero 0
	.end_amdhsa_kernel
	.text
.Lfunc_end0:
	.size	bluestein_single_fwd_len234_dim1_sp_op_CI_CI, .Lfunc_end0-bluestein_single_fwd_len234_dim1_sp_op_CI_CI
                                        ; -- End function
	.section	.AMDGPU.csdata,"",@progbits
; Kernel info:
; codeLenInByte = 11236
; NumSgprs: 62
; NumVgprs: 180
; NumAgprs: 0
; TotalNumVgprs: 180
; ScratchSize: 0
; MemoryBound: 0
; FloatMode: 240
; IeeeMode: 1
; LDSByteSize: 3744 bytes/workgroup (compile time only)
; SGPRBlocks: 7
; VGPRBlocks: 22
; NumSGPRsForWavesPerEU: 62
; NumVGPRsForWavesPerEU: 180
; AccumOffset: 180
; Occupancy: 2
; WaveLimiterHint : 1
; COMPUTE_PGM_RSRC2:SCRATCH_EN: 0
; COMPUTE_PGM_RSRC2:USER_SGPR: 2
; COMPUTE_PGM_RSRC2:TRAP_HANDLER: 0
; COMPUTE_PGM_RSRC2:TGID_X_EN: 1
; COMPUTE_PGM_RSRC2:TGID_Y_EN: 0
; COMPUTE_PGM_RSRC2:TGID_Z_EN: 0
; COMPUTE_PGM_RSRC2:TIDIG_COMP_CNT: 0
; COMPUTE_PGM_RSRC3_GFX90A:ACCUM_OFFSET: 44
; COMPUTE_PGM_RSRC3_GFX90A:TG_SPLIT: 0
	.text
	.p2alignl 6, 3212836864
	.fill 256, 4, 3212836864
	.type	__hip_cuid_df42ce3ccf043a6c,@object ; @__hip_cuid_df42ce3ccf043a6c
	.section	.bss,"aw",@nobits
	.globl	__hip_cuid_df42ce3ccf043a6c
__hip_cuid_df42ce3ccf043a6c:
	.byte	0                               ; 0x0
	.size	__hip_cuid_df42ce3ccf043a6c, 1

	.ident	"AMD clang version 19.0.0git (https://github.com/RadeonOpenCompute/llvm-project roc-6.4.0 25133 c7fe45cf4b819c5991fe208aaa96edf142730f1d)"
	.section	".note.GNU-stack","",@progbits
	.addrsig
	.addrsig_sym __hip_cuid_df42ce3ccf043a6c
	.amdgpu_metadata
---
amdhsa.kernels:
  - .agpr_count:     0
    .args:
      - .actual_access:  read_only
        .address_space:  global
        .offset:         0
        .size:           8
        .value_kind:     global_buffer
      - .actual_access:  read_only
        .address_space:  global
        .offset:         8
        .size:           8
        .value_kind:     global_buffer
      - .actual_access:  read_only
        .address_space:  global
        .offset:         16
        .size:           8
        .value_kind:     global_buffer
      - .actual_access:  read_only
        .address_space:  global
        .offset:         24
        .size:           8
        .value_kind:     global_buffer
      - .actual_access:  read_only
        .address_space:  global
        .offset:         32
        .size:           8
        .value_kind:     global_buffer
      - .offset:         40
        .size:           8
        .value_kind:     by_value
      - .address_space:  global
        .offset:         48
        .size:           8
        .value_kind:     global_buffer
      - .address_space:  global
        .offset:         56
        .size:           8
        .value_kind:     global_buffer
      - .address_space:  global
        .offset:         64
        .size:           8
        .value_kind:     global_buffer
      - .address_space:  global
        .offset:         72
        .size:           8
        .value_kind:     global_buffer
      - .offset:         80
        .size:           4
        .value_kind:     by_value
      - .address_space:  global
        .offset:         88
        .size:           8
        .value_kind:     global_buffer
      - .address_space:  global
        .offset:         96
        .size:           8
        .value_kind:     global_buffer
    .group_segment_fixed_size: 3744
    .kernarg_segment_align: 8
    .kernarg_segment_size: 104
    .language:       OpenCL C
    .language_version:
      - 2
      - 0
    .max_flat_workgroup_size: 52
    .name:           bluestein_single_fwd_len234_dim1_sp_op_CI_CI
    .private_segment_fixed_size: 0
    .sgpr_count:     62
    .sgpr_spill_count: 0
    .symbol:         bluestein_single_fwd_len234_dim1_sp_op_CI_CI.kd
    .uniform_work_group_size: 1
    .uses_dynamic_stack: false
    .vgpr_count:     180
    .vgpr_spill_count: 0
    .wavefront_size: 64
amdhsa.target:   amdgcn-amd-amdhsa--gfx950
amdhsa.version:
  - 1
  - 2
...

	.end_amdgpu_metadata
